;; amdgpu-corpus repo=ggml-org/llama.cpp kind=compiled arch=gfx942 opt=O3
	.text
	.amdgcn_target "amdgcn-amd-amdhsa--gfx942"
	.amdhsa_code_object_version 6
	.section	.text._ZL12rwkv_wkv_f32ILi64EEviiiiPKfS1_S1_S1_S1_S1_Pf,"axG",@progbits,_ZL12rwkv_wkv_f32ILi64EEviiiiPKfS1_S1_S1_S1_S1_Pf,comdat
	.globl	_ZL12rwkv_wkv_f32ILi64EEviiiiPKfS1_S1_S1_S1_S1_Pf ; -- Begin function _ZL12rwkv_wkv_f32ILi64EEviiiiPKfS1_S1_S1_S1_S1_Pf
	.p2align	8
	.type	_ZL12rwkv_wkv_f32ILi64EEviiiiPKfS1_S1_S1_S1_S1_Pf,@function
_ZL12rwkv_wkv_f32ILi64EEviiiiPKfS1_S1_S1_S1_S1_Pf: ; @_ZL12rwkv_wkv_f32ILi64EEviiiiPKfS1_S1_S1_S1_S1_Pf
; %bb.0:
	s_load_dwordx4 s[20:23], s[0:1], 0x0
	s_load_dwordx8 s[4:11], s[0:1], 0x30
	s_waitcnt lgkmcnt(0)
	s_abs_i32 s10, s2
	s_abs_i32 s3, s23
	v_cvt_f32_u32_e32 v1, s3
	s_sub_i32 s12, 0, s3
	s_xor_b32 s11, s2, s23
	s_ashr_i32 s11, s11, 31
	v_rcp_iflag_f32_e32 v1, v1
	s_nop 0
	v_mul_f32_e32 v1, 0x4f7ffffe, v1
	v_cvt_u32_f32_e32 v1, v1
	s_nop 0
	v_readfirstlane_b32 s13, v1
	s_mul_i32 s12, s12, s13
	s_mul_hi_u32 s12, s13, s12
	s_add_i32 s13, s13, s12
	s_mul_hi_u32 s12, s10, s13
	s_mul_i32 s13, s12, s3
	s_sub_i32 s10, s10, s13
	s_add_i32 s14, s12, 1
	s_sub_i32 s13, s10, s3
	s_cmp_ge_u32 s10, s3
	s_cselect_b32 s12, s14, s12
	s_cselect_b32 s10, s13, s10
	s_add_i32 s13, s12, 1
	s_cmp_ge_u32 s10, s3
	s_cselect_b32 s3, s13, s12
	s_xor_b32 s3, s3, s11
	s_sub_i32 s3, s3, s11
	s_mul_i32 s10, s3, s23
	s_mul_i32 s11, s22, s3
	s_sub_i32 s2, s2, s10
	s_lshl_b32 s10, s11, 6
	s_lshl_b32 s11, s2, 12
	s_add_i32 s11, s11, s10
	v_add_u32_e32 v28, s11, v0
	v_add_u32_e32 v30, 0x540, v28
	v_ashrrev_i32_e32 v29, 31, v28
	v_ashrrev_i32_e32 v31, 31, v30
	v_lshl_add_u64 v[2:3], v[28:29], 2, s[6:7]
	v_lshl_add_u64 v[34:35], v[30:31], 2, s[6:7]
	v_add_u32_e32 v30, 0x580, v28
	global_load_dword v26, v[2:3], off
	global_load_dword v27, v[2:3], off offset:256
	global_load_dword v24, v[2:3], off offset:512
	;; [unrolled: 1-line block ×15, first 2 shown]
	v_add_u32_e32 v2, 0x400, v28
	v_ashrrev_i32_e32 v31, 31, v30
	v_ashrrev_i32_e32 v3, 31, v2
	v_add_u32_e32 v4, 0x440, v28
	v_add_u32_e32 v6, 0x480, v28
	;; [unrolled: 1-line block ×4, first 2 shown]
	v_lshl_add_u64 v[38:39], v[30:31], 2, s[6:7]
	v_add_u32_e32 v30, 0x5c0, v28
	v_lshl_add_u64 v[2:3], v[2:3], 2, s[6:7]
	v_ashrrev_i32_e32 v5, 31, v4
	v_ashrrev_i32_e32 v7, 31, v6
	;; [unrolled: 1-line block ×5, first 2 shown]
	v_lshl_add_u64 v[4:5], v[4:5], 2, s[6:7]
	v_lshl_add_u64 v[6:7], v[6:7], 2, s[6:7]
	;; [unrolled: 1-line block ×5, first 2 shown]
	global_load_dword v42, v[2:3], off
	global_load_dword v43, v[4:5], off
	;; [unrolled: 1-line block ×8, first 2 shown]
	v_add_u32_e32 v34, 0x740, v28
	v_ashrrev_i32_e32 v35, 31, v34
	v_lshl_add_u64 v[40:41], v[34:35], 2, s[6:7]
	v_add_u32_e32 v34, 0x780, v28
	v_add_u32_e32 v2, 0x600, v28
	v_ashrrev_i32_e32 v35, 31, v34
	v_ashrrev_i32_e32 v3, 31, v2
	v_add_u32_e32 v4, 0x640, v28
	v_add_u32_e32 v6, 0x680, v28
	;; [unrolled: 1-line block ×4, first 2 shown]
	v_lshl_add_u64 v[46:47], v[34:35], 2, s[6:7]
	v_add_u32_e32 v34, 0x7c0, v28
	v_lshl_add_u64 v[2:3], v[2:3], 2, s[6:7]
	v_ashrrev_i32_e32 v5, 31, v4
	v_ashrrev_i32_e32 v7, 31, v6
	;; [unrolled: 1-line block ×5, first 2 shown]
	v_lshl_add_u64 v[4:5], v[4:5], 2, s[6:7]
	v_lshl_add_u64 v[6:7], v[6:7], 2, s[6:7]
	;; [unrolled: 1-line block ×5, first 2 shown]
	global_load_dword v48, v[2:3], off
	global_load_dword v49, v[4:5], off
	;; [unrolled: 1-line block ×8, first 2 shown]
	v_add_u32_e32 v40, 0x940, v28
	v_ashrrev_i32_e32 v41, 31, v40
	v_lshl_add_u64 v[52:53], v[40:41], 2, s[6:7]
	v_add_u32_e32 v40, 0x980, v28
	v_add_u32_e32 v2, 0x800, v28
	v_ashrrev_i32_e32 v41, 31, v40
	v_ashrrev_i32_e32 v3, 31, v2
	v_add_u32_e32 v4, 0x840, v28
	v_add_u32_e32 v6, 0x880, v28
	;; [unrolled: 1-line block ×4, first 2 shown]
	v_lshl_add_u64 v[54:55], v[40:41], 2, s[6:7]
	v_add_u32_e32 v40, 0x9c0, v28
	v_lshl_add_u64 v[2:3], v[2:3], 2, s[6:7]
	v_ashrrev_i32_e32 v5, 31, v4
	v_ashrrev_i32_e32 v7, 31, v6
	;; [unrolled: 1-line block ×5, first 2 shown]
	v_lshl_add_u64 v[4:5], v[4:5], 2, s[6:7]
	v_lshl_add_u64 v[6:7], v[6:7], 2, s[6:7]
	;; [unrolled: 1-line block ×5, first 2 shown]
	global_load_dword v56, v[2:3], off
	global_load_dword v57, v[4:5], off
	;; [unrolled: 1-line block ×8, first 2 shown]
	v_add_u32_e32 v54, 0xb80, v28
	v_ashrrev_i32_e32 v55, 31, v54
	v_add_u32_e32 v2, 0xa00, v28
	v_add_u32_e32 v52, 0xb40, v28
	v_lshl_add_u64 v[60:61], v[54:55], 2, s[6:7]
	v_add_u32_e32 v54, 0xbc0, v28
	v_ashrrev_i32_e32 v3, 31, v2
	v_add_u32_e32 v4, 0xa40, v28
	v_add_u32_e32 v6, 0xa80, v28
	v_add_u32_e32 v8, 0xac0, v28
	v_add_u32_e32 v10, 0xb00, v28
	v_ashrrev_i32_e32 v53, 31, v52
	v_ashrrev_i32_e32 v55, 31, v54
	v_lshl_add_u64 v[2:3], v[2:3], 2, s[6:7]
	v_ashrrev_i32_e32 v5, 31, v4
	v_ashrrev_i32_e32 v7, 31, v6
	;; [unrolled: 1-line block ×4, first 2 shown]
	v_lshl_add_u64 v[52:53], v[52:53], 2, s[6:7]
	v_lshl_add_u64 v[62:63], v[54:55], 2, s[6:7]
	;; [unrolled: 1-line block ×6, first 2 shown]
	global_load_dword v64, v[2:3], off
	global_load_dword v65, v[4:5], off
	;; [unrolled: 1-line block ×6, first 2 shown]
                                        ; kill: killed $vgpr52_vgpr53
                                        ; kill: killed $vgpr10_vgpr11
                                        ; kill: killed $vgpr8_vgpr9
                                        ; kill: killed $vgpr6_vgpr7
                                        ; kill: killed $vgpr4_vgpr5
                                        ; kill: killed $vgpr2_vgpr3
	s_nop 0
	global_load_dword v52, v[60:61], off
	global_load_dword v53, v[62:63], off
	v_add_u32_e32 v62, 0xd80, v28
	v_ashrrev_i32_e32 v63, 31, v62
	v_add_u32_e32 v2, 0xc00, v28
	v_add_u32_e32 v60, 0xd40, v28
	v_lshl_add_u64 v[66:67], v[62:63], 2, s[6:7]
	v_add_u32_e32 v62, 0xdc0, v28
	v_ashrrev_i32_e32 v3, 31, v2
	v_add_u32_e32 v4, 0xc40, v28
	v_add_u32_e32 v6, 0xc80, v28
	;; [unrolled: 1-line block ×4, first 2 shown]
	v_ashrrev_i32_e32 v61, 31, v60
	v_ashrrev_i32_e32 v63, 31, v62
	v_lshl_add_u64 v[2:3], v[2:3], 2, s[6:7]
	v_ashrrev_i32_e32 v5, 31, v4
	v_ashrrev_i32_e32 v7, 31, v6
	;; [unrolled: 1-line block ×4, first 2 shown]
	v_lshl_add_u64 v[60:61], v[60:61], 2, s[6:7]
	v_lshl_add_u64 v[70:71], v[62:63], 2, s[6:7]
	;; [unrolled: 1-line block ×6, first 2 shown]
	global_load_dword v72, v[2:3], off
	global_load_dword v73, v[4:5], off
	;; [unrolled: 1-line block ×6, first 2 shown]
                                        ; kill: killed $vgpr10_vgpr11
                                        ; kill: killed $vgpr60_vgpr61
	s_nop 0
	global_load_dword v60, v[66:67], off
	global_load_dword v61, v[70:71], off
	v_add_u32_e32 v70, 0xf80, v28
	v_add_u32_e32 v2, 0xe00, v28
	;; [unrolled: 1-line block ×3, first 2 shown]
	v_ashrrev_i32_e32 v71, 31, v70
	v_ashrrev_i32_e32 v3, 31, v2
	v_add_u32_e32 v4, 0xe40, v28
	v_add_u32_e32 v6, 0xe80, v28
	v_add_u32_e32 v8, 0xec0, v28
	v_add_u32_e32 v10, 0xf00, v28
	v_ashrrev_i32_e32 v67, 31, v66
	v_lshl_add_u64 v[78:79], v[70:71], 2, s[6:7]
	v_add_u32_e32 v70, 0xfc0, v28
	v_lshl_add_u64 v[2:3], v[2:3], 2, s[6:7]
	v_ashrrev_i32_e32 v5, 31, v4
	v_ashrrev_i32_e32 v7, 31, v6
	;; [unrolled: 1-line block ×4, first 2 shown]
	v_lshl_add_u64 v[66:67], v[66:67], 2, s[6:7]
	v_ashrrev_i32_e32 v71, 31, v70
	s_load_dwordx8 s[12:19], s[0:1], 0x10
	v_lshl_add_u64 v[4:5], v[4:5], 2, s[6:7]
	v_lshl_add_u64 v[6:7], v[6:7], 2, s[6:7]
	;; [unrolled: 1-line block ×5, first 2 shown]
	global_load_dword v76, v[2:3], off
	global_load_dword v77, v[4:5], off
	;; [unrolled: 1-line block ×6, first 2 shown]
	s_nop 0
	global_load_dword v66, v[78:79], off
	global_load_dword v67, v[80:81], off
	v_lshl_add_u32 v4, s2, 6, v0
	s_waitcnt lgkmcnt(0)
	v_mov_b32_e32 v2, s18
	v_mov_b32_e32 v3, s19
	v_ashrrev_i32_e32 v5, 31, v4
	v_lshl_add_u64 v[2:3], v[4:5], 2, v[2:3]
	s_waitcnt vmcnt(63) expcnt(7) lgkmcnt(15)
	s_barrier
	global_load_dword v1, v[2:3], off
	s_abs_i32 s0, s20
	v_cvt_f32_u32_e32 v2, s0
	s_sub_i32 s7, 0, s0
	s_abs_i32 s6, s21
	s_xor_b32 s2, s21, s20
	v_rcp_iflag_f32_e32 v2, v2
	s_ashr_i32 s2, s2, 31
	v_lshlrev_b32_e32 v29, 2, v0
	v_mul_f32_e32 v2, 0x4f7ffffe, v2
	v_cvt_u32_f32_e32 v2, v2
	s_waitcnt vmcnt(0)
	ds_write_b32 v29, v1 offset:768
	v_readfirstlane_b32 s1, v2
	s_mul_i32 s7, s7, s1
	s_mul_hi_u32 s7, s1, s7
	s_add_i32 s1, s1, s7
	s_mul_hi_u32 s1, s6, s1
	s_mul_i32 s7, s1, s0
	s_sub_i32 s6, s6, s7
	s_add_i32 s7, s1, 1
	s_sub_i32 s10, s6, s0
	s_cmp_ge_u32 s6, s0
	s_cselect_b32 s1, s7, s1
	s_cselect_b32 s6, s10, s6
	s_add_i32 s7, s1, 1
	s_cmp_ge_u32 s6, s0
	s_cselect_b32 s0, s7, s1
	s_xor_b32 s0, s0, s2
	s_sub_i32 s0, s0, s2
	s_mul_i32 s0, s0, s22
	s_mul_i32 s1, s0, s3
	s_add_i32 s3, s3, 1
	s_mul_i32 s0, s0, s3
	v_add_u32_e32 v83, s0, v4
	v_add_u32_e32 v78, s1, v4
	v_cmp_lt_i32_e32 vcc, v78, v83
	s_waitcnt lgkmcnt(0)
	s_barrier
	s_and_saveexec_b64 s[0:1], vcc
	s_cbranch_execz .LBB0_4
; %bb.1:
	v_ashrrev_i32_e32 v79, 31, v78
	s_ashr_i32 s23, s22, 31
	v_add_u32_e32 v84, 0x100, v29
	v_add_u32_e32 v85, 0x200, v29
	v_lshlrev_b64 v[80:81], 2, v[78:79]
	s_lshl_b64 s[6:7], s[22:23], 2
	s_mov_b64 s[2:3], 0
	v_mov_b32_e32 v79, 0
.LBB0_2:                                ; =>This Inner Loop Header: Depth=1
	v_lshl_add_u64 v[0:1], s[12:13], 0, v[80:81]
	s_barrier
	global_load_dword v0, v[0:1], off
	v_mov_b32_e32 v98, v26
	v_add_u32_e32 v78, s22, v78
	v_cmp_ge_i32_e32 vcc, v78, v83
	s_or_b64 s[2:3], vcc, s[2:3]
	s_waitcnt vmcnt(0)
	ds_write_b32 v29, v0
	v_lshl_add_u64 v[0:1], s[16:17], 0, v[80:81]
	global_load_dword v0, v[0:1], off
	s_waitcnt vmcnt(0)
	ds_write_b32 v84, v0
	v_lshl_add_u64 v[0:1], s[4:5], 0, v[80:81]
	global_load_dword v0, v[0:1], off
	s_waitcnt vmcnt(0)
	ds_write_b32 v85, v0
	v_lshl_add_u64 v[0:1], s[14:15], 0, v[80:81]
	s_waitcnt lgkmcnt(0)
	s_barrier
	global_load_dword v82, v[0:1], off
	ds_read_b128 v[86:89], v79 offset:256
	ds_read_b128 v[90:93], v79 offset:768
	ds_read_b128 v[94:97], v79
	ds_read_b128 v[8:11], v79 offset:16
	ds_read_b128 v[4:7], v79 offset:32
	;; [unrolled: 1-line block ×3, first 2 shown]
	s_waitcnt vmcnt(0) lgkmcnt(3)
	v_pk_mul_f32 v[94:95], v[82:83], v[94:95] op_sel_hi:[0,1]
	v_fmac_f32_e32 v98, v94, v90
	v_mov_b32_e32 v90, v27
	v_fma_f32 v86, v86, v98, 0
	v_fmac_f32_e32 v90, v95, v91
	ds_read_b128 v[98:101], v79 offset:512
	v_fmac_f32_e32 v86, v87, v90
	v_pk_mul_f32 v[90:91], v[82:83], v[96:97] op_sel_hi:[0,1]
	v_mov_b32_e32 v87, v24
	v_fmac_f32_e32 v87, v90, v92
	v_fmac_f32_e32 v86, v88, v87
	v_mov_b32_e32 v87, v25
	v_fmac_f32_e32 v87, v91, v93
	s_waitcnt lgkmcnt(0)
	v_pk_fma_f32 v[26:27], v[26:27], v[98:99], v[94:95]
	v_fmac_f32_e32 v86, v89, v87
	v_pk_fma_f32 v[24:25], v[24:25], v[100:101], v[90:91]
	ds_read_b128 v[88:91], v79 offset:272
	ds_read_b128 v[92:95], v79 offset:784
	;; [unrolled: 1-line block ×3, first 2 shown]
	v_pk_mul_f32 v[8:9], v[82:83], v[8:9] op_sel_hi:[0,1]
	v_mov_b32_e32 v87, v22
	v_pk_mul_f32 v[4:5], v[82:83], v[4:5] op_sel_hi:[0,1]
	s_waitcnt lgkmcnt(1)
	v_fmac_f32_e32 v87, v8, v92
	v_fmac_f32_e32 v86, v88, v87
	v_mov_b32_e32 v87, v23
	v_fmac_f32_e32 v87, v9, v93
	s_waitcnt lgkmcnt(0)
	v_pk_fma_f32 v[22:23], v[22:23], v[96:97], v[8:9]
	v_pk_mul_f32 v[8:9], v[82:83], v[10:11] op_sel_hi:[0,1]
	v_mov_b32_e32 v10, v20
	v_fmac_f32_e32 v86, v89, v87
	v_fmac_f32_e32 v10, v8, v94
	;; [unrolled: 1-line block ×3, first 2 shown]
	v_mov_b32_e32 v10, v21
	v_fmac_f32_e32 v10, v9, v95
	v_fmac_f32_e32 v86, v91, v10
	v_pk_fma_f32 v[20:21], v[20:21], v[98:99], v[8:9]
	ds_read_b128 v[8:11], v79 offset:288
	ds_read_b128 v[88:91], v79 offset:800
	;; [unrolled: 1-line block ×3, first 2 shown]
	v_mov_b32_e32 v87, v18
	v_pk_mul_f32 v[0:1], v[82:83], v[0:1] op_sel_hi:[0,1]
	s_waitcnt lgkmcnt(1)
	v_fmac_f32_e32 v87, v4, v88
	v_fmac_f32_e32 v86, v8, v87
	v_mov_b32_e32 v8, v19
	v_fmac_f32_e32 v8, v5, v89
	s_waitcnt lgkmcnt(0)
	v_pk_fma_f32 v[18:19], v[18:19], v[92:93], v[4:5]
	v_pk_mul_f32 v[4:5], v[82:83], v[6:7] op_sel_hi:[0,1]
	v_mov_b32_e32 v6, v16
	v_fmac_f32_e32 v86, v9, v8
	v_fmac_f32_e32 v6, v4, v90
	;; [unrolled: 1-line block ×3, first 2 shown]
	v_mov_b32_e32 v6, v17
	v_fmac_f32_e32 v6, v5, v91
	v_fmac_f32_e32 v86, v11, v6
	v_pk_fma_f32 v[16:17], v[16:17], v[94:95], v[4:5]
	ds_read_b128 v[4:7], v79 offset:304
	ds_read_b128 v[8:11], v79 offset:816
	;; [unrolled: 1-line block ×3, first 2 shown]
	v_mov_b32_e32 v87, v14
	s_waitcnt lgkmcnt(1)
	v_fmac_f32_e32 v87, v0, v8
	v_fmac_f32_e32 v86, v4, v87
	v_mov_b32_e32 v4, v15
	v_fmac_f32_e32 v4, v1, v9
	s_waitcnt lgkmcnt(0)
	v_pk_fma_f32 v[14:15], v[14:15], v[88:89], v[0:1]
	v_pk_mul_f32 v[0:1], v[82:83], v[2:3] op_sel_hi:[0,1]
	v_mov_b32_e32 v2, v12
	v_fmac_f32_e32 v86, v5, v4
	v_fmac_f32_e32 v2, v0, v10
	v_fmac_f32_e32 v86, v6, v2
	v_mov_b32_e32 v2, v13
	v_fmac_f32_e32 v2, v1, v11
	v_fmac_f32_e32 v86, v7, v2
	v_pk_fma_f32 v[12:13], v[12:13], v[90:91], v[0:1]
	ds_read_b128 v[0:3], v79 offset:320
	ds_read_b128 v[4:7], v79 offset:832
	ds_read_b128 v[8:11], v79 offset:64
	v_mov_b32_e32 v87, v42
	ds_read_b128 v[88:91], v79 offset:576
	s_waitcnt lgkmcnt(1)
	v_pk_mul_f32 v[8:9], v[82:83], v[8:9] op_sel_hi:[0,1]
	v_fmac_f32_e32 v87, v8, v4
	v_fmac_f32_e32 v86, v0, v87
	v_mov_b32_e32 v0, v43
	v_fmac_f32_e32 v0, v9, v5
	v_fmac_f32_e32 v86, v1, v0
	v_pk_mul_f32 v[0:1], v[82:83], v[10:11] op_sel_hi:[0,1]
	v_mov_b32_e32 v4, v36
	v_fmac_f32_e32 v4, v0, v6
	v_fmac_f32_e32 v86, v2, v4
	v_mov_b32_e32 v2, v37
	v_fmac_f32_e32 v2, v1, v7
	s_waitcnt lgkmcnt(0)
	v_pk_fma_f32 v[42:43], v[42:43], v[88:89], v[8:9]
	v_fmac_f32_e32 v86, v3, v2
	v_pk_fma_f32 v[36:37], v[36:37], v[90:91], v[0:1]
	ds_read_b128 v[0:3], v79 offset:336
	ds_read_b128 v[4:7], v79 offset:848
	ds_read_b128 v[8:11], v79 offset:80
	v_mov_b32_e32 v87, v32
	ds_read_b128 v[88:91], v79 offset:592
	s_waitcnt lgkmcnt(1)
	v_pk_mul_f32 v[8:9], v[82:83], v[8:9] op_sel_hi:[0,1]
	v_fmac_f32_e32 v87, v8, v4
	v_fmac_f32_e32 v86, v0, v87
	v_mov_b32_e32 v0, v33
	v_fmac_f32_e32 v0, v9, v5
	v_fmac_f32_e32 v86, v1, v0
	v_pk_mul_f32 v[0:1], v[82:83], v[10:11] op_sel_hi:[0,1]
	v_mov_b32_e32 v4, v30
	v_fmac_f32_e32 v4, v0, v6
	v_fmac_f32_e32 v86, v2, v4
	v_mov_b32_e32 v2, v31
	v_fmac_f32_e32 v2, v1, v7
	s_waitcnt lgkmcnt(0)
	v_pk_fma_f32 v[32:33], v[32:33], v[88:89], v[8:9]
	v_fmac_f32_e32 v86, v3, v2
	v_pk_fma_f32 v[30:31], v[30:31], v[90:91], v[0:1]
	ds_read_b128 v[0:3], v79 offset:352
	ds_read_b128 v[4:7], v79 offset:864
	ds_read_b128 v[8:11], v79 offset:96
	v_mov_b32_e32 v87, v48
	ds_read_b128 v[88:91], v79 offset:608
	s_waitcnt lgkmcnt(1)
	v_pk_mul_f32 v[8:9], v[82:83], v[8:9] op_sel_hi:[0,1]
	v_fmac_f32_e32 v87, v8, v4
	v_fmac_f32_e32 v86, v0, v87
	v_mov_b32_e32 v0, v49
	v_fmac_f32_e32 v0, v9, v5
	v_fmac_f32_e32 v86, v1, v0
	v_pk_mul_f32 v[0:1], v[82:83], v[10:11] op_sel_hi:[0,1]
	v_mov_b32_e32 v4, v44
	v_fmac_f32_e32 v4, v0, v6
	v_fmac_f32_e32 v86, v2, v4
	v_mov_b32_e32 v2, v45
	v_fmac_f32_e32 v2, v1, v7
	s_waitcnt lgkmcnt(0)
	v_pk_fma_f32 v[48:49], v[48:49], v[88:89], v[8:9]
	v_fmac_f32_e32 v86, v3, v2
	v_pk_fma_f32 v[44:45], v[44:45], v[90:91], v[0:1]
	ds_read_b128 v[0:3], v79 offset:368
	ds_read_b128 v[4:7], v79 offset:880
	ds_read_b128 v[8:11], v79 offset:112
	v_mov_b32_e32 v87, v38
	ds_read_b128 v[88:91], v79 offset:624
	s_waitcnt lgkmcnt(1)
	v_pk_mul_f32 v[8:9], v[82:83], v[8:9] op_sel_hi:[0,1]
	v_fmac_f32_e32 v87, v8, v4
	v_fmac_f32_e32 v86, v0, v87
	v_mov_b32_e32 v0, v39
	v_fmac_f32_e32 v0, v9, v5
	v_fmac_f32_e32 v86, v1, v0
	v_pk_mul_f32 v[0:1], v[82:83], v[10:11] op_sel_hi:[0,1]
	v_mov_b32_e32 v4, v34
	v_fmac_f32_e32 v4, v0, v6
	v_fmac_f32_e32 v86, v2, v4
	v_mov_b32_e32 v2, v35
	v_fmac_f32_e32 v2, v1, v7
	s_waitcnt lgkmcnt(0)
	v_pk_fma_f32 v[38:39], v[38:39], v[88:89], v[8:9]
	v_fmac_f32_e32 v86, v3, v2
	v_pk_fma_f32 v[34:35], v[34:35], v[90:91], v[0:1]
	ds_read_b128 v[0:3], v79 offset:384
	ds_read_b128 v[4:7], v79 offset:896
	ds_read_b128 v[8:11], v79 offset:128
	v_mov_b32_e32 v87, v56
	ds_read_b128 v[88:91], v79 offset:640
	s_waitcnt lgkmcnt(1)
	v_pk_mul_f32 v[8:9], v[82:83], v[8:9] op_sel_hi:[0,1]
	v_fmac_f32_e32 v87, v8, v4
	v_fmac_f32_e32 v86, v0, v87
	v_mov_b32_e32 v0, v57
	v_fmac_f32_e32 v0, v9, v5
	v_fmac_f32_e32 v86, v1, v0
	v_pk_mul_f32 v[0:1], v[82:83], v[10:11] op_sel_hi:[0,1]
	v_mov_b32_e32 v4, v50
	v_fmac_f32_e32 v4, v0, v6
	v_fmac_f32_e32 v86, v2, v4
	v_mov_b32_e32 v2, v51
	v_fmac_f32_e32 v2, v1, v7
	s_waitcnt lgkmcnt(0)
	v_pk_fma_f32 v[56:57], v[56:57], v[88:89], v[8:9]
	v_fmac_f32_e32 v86, v3, v2
	v_pk_fma_f32 v[50:51], v[50:51], v[90:91], v[0:1]
	ds_read_b128 v[0:3], v79 offset:400
	ds_read_b128 v[4:7], v79 offset:912
	ds_read_b128 v[8:11], v79 offset:144
	v_mov_b32_e32 v87, v46
	ds_read_b128 v[88:91], v79 offset:656
	s_waitcnt lgkmcnt(1)
	v_pk_mul_f32 v[8:9], v[82:83], v[8:9] op_sel_hi:[0,1]
	v_fmac_f32_e32 v87, v8, v4
	v_fmac_f32_e32 v86, v0, v87
	v_mov_b32_e32 v0, v47
	v_fmac_f32_e32 v0, v9, v5
	v_fmac_f32_e32 v86, v1, v0
	v_pk_mul_f32 v[0:1], v[82:83], v[10:11] op_sel_hi:[0,1]
	v_mov_b32_e32 v4, v40
	v_fmac_f32_e32 v4, v0, v6
	v_fmac_f32_e32 v86, v2, v4
	v_mov_b32_e32 v2, v41
	v_fmac_f32_e32 v2, v1, v7
	s_waitcnt lgkmcnt(0)
	v_pk_fma_f32 v[46:47], v[46:47], v[88:89], v[8:9]
	v_fmac_f32_e32 v86, v3, v2
	v_pk_fma_f32 v[40:41], v[40:41], v[90:91], v[0:1]
	ds_read_b128 v[0:3], v79 offset:416
	ds_read_b128 v[4:7], v79 offset:928
	ds_read_b128 v[8:11], v79 offset:160
	v_mov_b32_e32 v87, v64
	ds_read_b128 v[88:91], v79 offset:672
	s_waitcnt lgkmcnt(1)
	v_pk_mul_f32 v[8:9], v[82:83], v[8:9] op_sel_hi:[0,1]
	v_fmac_f32_e32 v87, v8, v4
	v_fmac_f32_e32 v86, v0, v87
	v_mov_b32_e32 v0, v65
	v_fmac_f32_e32 v0, v9, v5
	v_fmac_f32_e32 v86, v1, v0
	v_pk_mul_f32 v[0:1], v[82:83], v[10:11] op_sel_hi:[0,1]
	v_mov_b32_e32 v4, v58
	v_fmac_f32_e32 v4, v0, v6
	v_fmac_f32_e32 v86, v2, v4
	v_mov_b32_e32 v2, v59
	v_fmac_f32_e32 v2, v1, v7
	s_waitcnt lgkmcnt(0)
	v_pk_fma_f32 v[64:65], v[64:65], v[88:89], v[8:9]
	v_fmac_f32_e32 v86, v3, v2
	v_pk_fma_f32 v[58:59], v[58:59], v[90:91], v[0:1]
	ds_read_b128 v[0:3], v79 offset:432
	ds_read_b128 v[4:7], v79 offset:944
	ds_read_b128 v[8:11], v79 offset:176
	v_mov_b32_e32 v87, v54
	ds_read_b128 v[88:91], v79 offset:688
	s_waitcnt lgkmcnt(1)
	v_pk_mul_f32 v[8:9], v[82:83], v[8:9] op_sel_hi:[0,1]
	v_fmac_f32_e32 v87, v8, v4
	v_fmac_f32_e32 v86, v0, v87
	v_mov_b32_e32 v0, v55
	v_fmac_f32_e32 v0, v9, v5
	v_fmac_f32_e32 v86, v1, v0
	v_pk_mul_f32 v[0:1], v[82:83], v[10:11] op_sel_hi:[0,1]
	v_mov_b32_e32 v4, v52
	v_fmac_f32_e32 v4, v0, v6
	v_fmac_f32_e32 v86, v2, v4
	v_mov_b32_e32 v2, v53
	v_fmac_f32_e32 v2, v1, v7
	s_waitcnt lgkmcnt(0)
	v_pk_fma_f32 v[54:55], v[54:55], v[88:89], v[8:9]
	v_fmac_f32_e32 v86, v3, v2
	v_pk_fma_f32 v[52:53], v[52:53], v[90:91], v[0:1]
	ds_read_b128 v[0:3], v79 offset:448
	ds_read_b128 v[4:7], v79 offset:960
	;; [unrolled: 1-line block ×3, first 2 shown]
	v_mov_b32_e32 v87, v72
	ds_read_b128 v[88:91], v79 offset:704
	s_waitcnt lgkmcnt(1)
	v_pk_mul_f32 v[8:9], v[82:83], v[8:9] op_sel_hi:[0,1]
	v_fmac_f32_e32 v87, v8, v4
	v_fmac_f32_e32 v86, v0, v87
	v_mov_b32_e32 v0, v73
	v_fmac_f32_e32 v0, v9, v5
	v_fmac_f32_e32 v86, v1, v0
	v_pk_mul_f32 v[0:1], v[82:83], v[10:11] op_sel_hi:[0,1]
	v_mov_b32_e32 v4, v68
	v_fmac_f32_e32 v4, v0, v6
	v_fmac_f32_e32 v86, v2, v4
	v_mov_b32_e32 v2, v69
	v_fmac_f32_e32 v2, v1, v7
	v_fmac_f32_e32 v86, v3, v2
	s_waitcnt lgkmcnt(0)
	v_pk_fma_f32 v[68:69], v[68:69], v[90:91], v[0:1]
	ds_read_b128 v[0:3], v79 offset:208
	v_pk_fma_f32 v[72:73], v[72:73], v[88:89], v[8:9]
	ds_read_b128 v[4:7], v79 offset:464
	ds_read_b128 v[8:11], v79 offset:976
	s_waitcnt lgkmcnt(2)
	v_pk_mul_f32 v[0:1], v[82:83], v[0:1] op_sel_hi:[0,1]
	s_waitcnt lgkmcnt(0)
	v_pk_fma_f32 v[8:9], v[0:1], v[8:9], v[62:63]
	s_nop 0
	v_pk_mul_f32 v[4:5], v[4:5], v[8:9]
	s_nop 0
	v_add_f32_e32 v4, v86, v4
	ds_read_b128 v[86:89], v79 offset:720
	v_add_f32_e32 v4, v4, v5
	s_waitcnt lgkmcnt(0)
	v_pk_fma_f32 v[62:63], v[62:63], v[86:87], v[0:1]
	v_pk_mul_f32 v[0:1], v[82:83], v[2:3] op_sel_hi:[0,1]
	v_pk_fma_f32 v[2:3], v[0:1], v[10:11], v[60:61]
	v_pk_fma_f32 v[60:61], v[60:61], v[88:89], v[0:1]
	v_pk_mul_f32 v[2:3], v[6:7], v[2:3]
	s_nop 0
	v_add_f32_e32 v2, v4, v2
	v_add_f32_e32 v86, v2, v3
	ds_read_b128 v[0:3], v79 offset:224
	ds_read_b128 v[4:7], v79 offset:480
	;; [unrolled: 1-line block ×3, first 2 shown]
	s_waitcnt lgkmcnt(2)
	v_pk_mul_f32 v[0:1], v[82:83], v[0:1] op_sel_hi:[0,1]
	s_waitcnt lgkmcnt(0)
	v_pk_fma_f32 v[8:9], v[0:1], v[8:9], v[76:77]
	s_nop 0
	v_pk_mul_f32 v[4:5], v[4:5], v[8:9]
	s_nop 0
	v_add_f32_e32 v4, v86, v4
	ds_read_b128 v[86:89], v79 offset:736
	v_add_f32_e32 v4, v4, v5
	s_waitcnt lgkmcnt(0)
	v_pk_fma_f32 v[76:77], v[76:77], v[86:87], v[0:1]
	v_pk_mul_f32 v[0:1], v[82:83], v[2:3] op_sel_hi:[0,1]
	v_pk_fma_f32 v[2:3], v[0:1], v[10:11], v[74:75]
	v_pk_fma_f32 v[74:75], v[74:75], v[88:89], v[0:1]
	v_pk_mul_f32 v[2:3], v[6:7], v[2:3]
	s_nop 0
	v_add_f32_e32 v2, v4, v2
	v_add_f32_e32 v86, v2, v3
	ds_read_b128 v[0:3], v79 offset:240
	ds_read_b128 v[4:7], v79 offset:496
	;; [unrolled: 1-line block ×3, first 2 shown]
	s_waitcnt lgkmcnt(2)
	v_pk_mul_f32 v[0:1], v[82:83], v[0:1] op_sel_hi:[0,1]
	s_waitcnt lgkmcnt(0)
	v_pk_fma_f32 v[8:9], v[0:1], v[8:9], v[70:71]
	s_nop 0
	v_pk_mul_f32 v[4:5], v[4:5], v[8:9]
	s_nop 0
	v_add_f32_e32 v4, v86, v4
	ds_read_b128 v[86:89], v79 offset:752
	v_add_f32_e32 v4, v4, v5
	s_waitcnt lgkmcnt(0)
	v_pk_fma_f32 v[70:71], v[70:71], v[86:87], v[0:1]
	v_pk_mul_f32 v[0:1], v[82:83], v[2:3] op_sel_hi:[0,1]
	v_pk_fma_f32 v[2:3], v[0:1], v[10:11], v[66:67]
	v_pk_fma_f32 v[66:67], v[66:67], v[88:89], v[0:1]
	v_pk_mul_f32 v[2:3], v[6:7], v[2:3]
	v_lshl_add_u64 v[0:1], s[8:9], 0, v[80:81]
	v_add_f32_e32 v2, v4, v2
	v_add_f32_e32 v2, v2, v3
	v_lshl_add_u64 v[80:81], v[80:81], 0, s[6:7]
	global_store_dword v[0:1], v2, off
	s_andn2_b64 exec, exec, s[2:3]
	s_cbranch_execnz .LBB0_2
; %bb.3:
	s_or_b64 exec, exec, s[2:3]
.LBB0_4:
	s_or_b64 exec, exec, s[0:1]
	s_mul_i32 s0, s22, s21
	v_add_u32_e32 v0, s0, v28
	v_ashrrev_i32_e32 v1, 31, v0
	v_lshl_add_u64 v[2:3], v[0:1], 2, s[8:9]
	global_store_dword v[2:3], v26, off
	global_store_dword v[2:3], v27, off offset:256
	global_store_dword v[2:3], v24, off offset:512
	;; [unrolled: 1-line block ×15, first 2 shown]
	v_add_u32_e32 v2, 0x400, v0
	v_ashrrev_i32_e32 v3, 31, v2
	v_lshl_add_u64 v[2:3], v[2:3], 2, s[8:9]
	global_store_dword v[2:3], v42, off
	v_add_u32_e32 v2, 0x440, v0
	v_ashrrev_i32_e32 v3, 31, v2
	v_lshl_add_u64 v[2:3], v[2:3], 2, s[8:9]
	global_store_dword v[2:3], v43, off
	;; [unrolled: 4-line block ×46, first 2 shown]
	v_add_u32_e32 v2, 0xf80, v0
	v_add_u32_e32 v0, 0xfc0, v0
	v_ashrrev_i32_e32 v3, 31, v2
	v_ashrrev_i32_e32 v1, 31, v0
	v_lshl_add_u64 v[2:3], v[2:3], 2, s[8:9]
	v_lshl_add_u64 v[0:1], v[0:1], 2, s[8:9]
	global_store_dword v[2:3], v66, off
	global_store_dword v[0:1], v67, off
	s_endpgm
	.section	.rodata,"a",@progbits
	.p2align	6, 0x0
	.amdhsa_kernel _ZL12rwkv_wkv_f32ILi64EEviiiiPKfS1_S1_S1_S1_S1_Pf
		.amdhsa_group_segment_fixed_size 1024
		.amdhsa_private_segment_fixed_size 0
		.amdhsa_kernarg_size 72
		.amdhsa_user_sgpr_count 2
		.amdhsa_user_sgpr_dispatch_ptr 0
		.amdhsa_user_sgpr_queue_ptr 0
		.amdhsa_user_sgpr_kernarg_segment_ptr 1
		.amdhsa_user_sgpr_dispatch_id 0
		.amdhsa_user_sgpr_kernarg_preload_length 0
		.amdhsa_user_sgpr_kernarg_preload_offset 0
		.amdhsa_user_sgpr_private_segment_size 0
		.amdhsa_uses_dynamic_stack 0
		.amdhsa_enable_private_segment 0
		.amdhsa_system_sgpr_workgroup_id_x 1
		.amdhsa_system_sgpr_workgroup_id_y 0
		.amdhsa_system_sgpr_workgroup_id_z 0
		.amdhsa_system_sgpr_workgroup_info 0
		.amdhsa_system_vgpr_workitem_id 0
		.amdhsa_next_free_vgpr 102
		.amdhsa_next_free_sgpr 24
		.amdhsa_accum_offset 104
		.amdhsa_reserve_vcc 1
		.amdhsa_float_round_mode_32 0
		.amdhsa_float_round_mode_16_64 0
		.amdhsa_float_denorm_mode_32 3
		.amdhsa_float_denorm_mode_16_64 3
		.amdhsa_dx10_clamp 1
		.amdhsa_ieee_mode 1
		.amdhsa_fp16_overflow 0
		.amdhsa_tg_split 0
		.amdhsa_exception_fp_ieee_invalid_op 0
		.amdhsa_exception_fp_denorm_src 0
		.amdhsa_exception_fp_ieee_div_zero 0
		.amdhsa_exception_fp_ieee_overflow 0
		.amdhsa_exception_fp_ieee_underflow 0
		.amdhsa_exception_fp_ieee_inexact 0
		.amdhsa_exception_int_div_zero 0
	.end_amdhsa_kernel
	.section	.text._ZL12rwkv_wkv_f32ILi64EEviiiiPKfS1_S1_S1_S1_S1_Pf,"axG",@progbits,_ZL12rwkv_wkv_f32ILi64EEviiiiPKfS1_S1_S1_S1_S1_Pf,comdat
.Lfunc_end0:
	.size	_ZL12rwkv_wkv_f32ILi64EEviiiiPKfS1_S1_S1_S1_S1_Pf, .Lfunc_end0-_ZL12rwkv_wkv_f32ILi64EEviiiiPKfS1_S1_S1_S1_S1_Pf
                                        ; -- End function
	.section	.AMDGPU.csdata,"",@progbits
; Kernel info:
; codeLenInByte = 5556
; NumSgprs: 30
; NumVgprs: 102
; NumAgprs: 0
; TotalNumVgprs: 102
; ScratchSize: 0
; MemoryBound: 0
; FloatMode: 240
; IeeeMode: 1
; LDSByteSize: 1024 bytes/workgroup (compile time only)
; SGPRBlocks: 3
; VGPRBlocks: 12
; NumSGPRsForWavesPerEU: 30
; NumVGPRsForWavesPerEU: 102
; AccumOffset: 104
; Occupancy: 4
; WaveLimiterHint : 1
; COMPUTE_PGM_RSRC2:SCRATCH_EN: 0
; COMPUTE_PGM_RSRC2:USER_SGPR: 2
; COMPUTE_PGM_RSRC2:TRAP_HANDLER: 0
; COMPUTE_PGM_RSRC2:TGID_X_EN: 1
; COMPUTE_PGM_RSRC2:TGID_Y_EN: 0
; COMPUTE_PGM_RSRC2:TGID_Z_EN: 0
; COMPUTE_PGM_RSRC2:TIDIG_COMP_CNT: 0
; COMPUTE_PGM_RSRC3_GFX90A:ACCUM_OFFSET: 25
; COMPUTE_PGM_RSRC3_GFX90A:TG_SPLIT: 0
	.section	.text._ZL12rwkv_wkv_f32ILi128EEviiiiPKfS1_S1_S1_S1_S1_Pf,"axG",@progbits,_ZL12rwkv_wkv_f32ILi128EEviiiiPKfS1_S1_S1_S1_S1_Pf,comdat
	.globl	_ZL12rwkv_wkv_f32ILi128EEviiiiPKfS1_S1_S1_S1_S1_Pf ; -- Begin function _ZL12rwkv_wkv_f32ILi128EEviiiiPKfS1_S1_S1_S1_S1_Pf
	.p2align	8
	.type	_ZL12rwkv_wkv_f32ILi128EEviiiiPKfS1_S1_S1_S1_S1_Pf,@function
_ZL12rwkv_wkv_f32ILi128EEviiiiPKfS1_S1_S1_S1_S1_Pf: ; @_ZL12rwkv_wkv_f32ILi128EEviiiiPKfS1_S1_S1_S1_S1_Pf
; %bb.0:
	s_load_dwordx4 s[20:23], s[0:1], 0x0
	s_load_dwordx8 s[12:19], s[0:1], 0x10
	s_load_dwordx8 s[4:11], s[0:1], 0x30
	s_abs_i32 s1, s2
	s_waitcnt lgkmcnt(0)
	s_abs_i32 s3, s23
	v_cvt_f32_u32_e32 v1, s3
	s_sub_i32 s10, 0, s3
	s_xor_b32 s0, s2, s23
	v_mov_b32_e32 v2, s18
	v_rcp_iflag_f32_e32 v1, v1
	s_ashr_i32 s0, s0, 31
	v_mov_b32_e32 v3, s19
	v_mul_f32_e32 v1, 0x4f7ffffe, v1
	v_cvt_u32_f32_e32 v1, v1
	s_nop 0
	v_readfirstlane_b32 s11, v1
	s_mul_i32 s10, s10, s11
	s_mul_hi_u32 s10, s11, s10
	s_add_i32 s11, s11, s10
	s_mul_hi_u32 s10, s1, s11
	s_mul_i32 s11, s10, s3
	s_sub_i32 s1, s1, s11
	s_add_i32 s11, s10, 1
	s_sub_i32 s18, s1, s3
	s_cmp_ge_u32 s1, s3
	s_cselect_b32 s10, s11, s10
	s_cselect_b32 s1, s18, s1
	s_add_i32 s11, s10, 1
	s_cmp_ge_u32 s1, s3
	s_cselect_b32 s1, s11, s10
	s_xor_b32 s1, s1, s0
	s_sub_i32 s0, s1, s0
	s_mul_i32 s1, s0, s23
	s_sub_i32 s1, s2, s1
	s_mul_i32 s2, s22, s0
	s_lshl_b32 s2, s2, 7
	s_lshl_b32 s3, s1, 14
	s_add_i32 s3, s3, s2
	v_add_u32_e32 v6, s3, v0
	v_ashrrev_i32_e32 v7, 31, v6
	v_lshl_add_u64 v[4:5], v[6:7], 2, s[6:7]
	global_load_dword v10, v[4:5], off
	global_load_dword v11, v[4:5], off offset:512
	global_load_dword v8, v[4:5], off offset:1024
	;; [unrolled: 1-line block ×5, first 2 shown]
                                        ; kill: killed $vgpr4_vgpr5
	s_abs_i32 s3, s21
	s_xor_b32 s2, s21, s20
	s_ashr_i32 s2, s2, 31
	s_waitcnt vmcnt(0)
	scratch_store_dwordx2 off, v[12:13], off offset:24 ; 8-byte Folded Spill
	global_load_dword v12, v[4:5], off offset:3072
	s_nop 0
	global_load_dword v13, v[4:5], off offset:3584
	v_add_u32_e32 v4, 0x400, v6
	v_ashrrev_i32_e32 v5, 31, v4
	v_lshl_add_u64 v[4:5], v[4:5], 2, s[6:7]
	s_waitcnt vmcnt(0)
	scratch_store_dwordx2 off, v[12:13], off offset:16 ; 8-byte Folded Spill
	global_load_dword v12, v[4:5], off
	v_add_u32_e32 v4, 0x480, v6
	v_ashrrev_i32_e32 v5, 31, v4
	v_lshl_add_u64 v[4:5], v[4:5], 2, s[6:7]
	global_load_dword v13, v[4:5], off
	v_add_u32_e32 v4, 0x500, v6
	v_ashrrev_i32_e32 v5, 31, v4
	v_lshl_add_u64 v[4:5], v[4:5], 2, s[6:7]
	s_waitcnt vmcnt(0)
	scratch_store_dwordx2 off, v[12:13], off offset:40 ; 8-byte Folded Spill
	global_load_dword v12, v[4:5], off
	v_add_u32_e32 v4, 0x580, v6
	v_ashrrev_i32_e32 v5, 31, v4
	v_lshl_add_u64 v[4:5], v[4:5], 2, s[6:7]
	global_load_dword v13, v[4:5], off
	;; [unrolled: 10-line block ×3, first 2 shown]
	v_add_u32_e32 v4, 0x700, v6
	v_ashrrev_i32_e32 v5, 31, v4
	v_lshl_add_u64 v[4:5], v[4:5], 2, s[6:7]
	global_load_dword v14, v[4:5], off
	v_add_u32_e32 v4, 0x780, v6
	v_ashrrev_i32_e32 v5, 31, v4
	v_lshl_add_u64 v[4:5], v[4:5], 2, s[6:7]
	global_load_dword v15, v[4:5], off
	;; [unrolled: 4-line block ×6, first 2 shown]
	v_add_u32_e32 v4, 0xa00, v6
	v_ashrrev_i32_e32 v5, 31, v4
	v_lshl_add_u64 v[4:5], v[4:5], 2, s[6:7]
	s_waitcnt vmcnt(6)
	scratch_store_dwordx2 off, v[12:13], off offset:56 ; 8-byte Folded Spill
	global_load_dword v12, v[4:5], off
	v_add_u32_e32 v4, 0xa80, v6
	v_ashrrev_i32_e32 v5, 31, v4
	v_lshl_add_u64 v[4:5], v[4:5], 2, s[6:7]
	global_load_dword v13, v[4:5], off
	v_add_u32_e32 v4, 0xb00, v6
	v_ashrrev_i32_e32 v5, 31, v4
	v_lshl_add_u64 v[4:5], v[4:5], 2, s[6:7]
	global_load_dword v26, v[4:5], off
	v_add_u32_e32 v4, 0xb80, v6
	v_ashrrev_i32_e32 v5, 31, v4
	v_lshl_add_u64 v[4:5], v[4:5], 2, s[6:7]
	global_load_dword v27, v[4:5], off
	v_add_u32_e32 v4, 0xc00, v6
	v_ashrrev_i32_e32 v5, 31, v4
	v_lshl_add_u64 v[4:5], v[4:5], 2, s[6:7]
	global_load_dword v28, v[4:5], off
	v_add_u32_e32 v4, 0xc80, v6
	v_ashrrev_i32_e32 v5, 31, v4
	v_lshl_add_u64 v[4:5], v[4:5], 2, s[6:7]
	global_load_dword v29, v[4:5], off
	v_add_u32_e32 v4, 0xd00, v6
	v_ashrrev_i32_e32 v5, 31, v4
	v_lshl_add_u64 v[4:5], v[4:5], 2, s[6:7]
	global_load_dword v50, v[4:5], off
	v_add_u32_e32 v4, 0xd80, v6
	v_ashrrev_i32_e32 v5, 31, v4
	v_lshl_add_u64 v[4:5], v[4:5], 2, s[6:7]
	global_load_dword v51, v[4:5], off
	v_add_u32_e32 v4, 0xe00, v6
	v_ashrrev_i32_e32 v5, 31, v4
	v_lshl_add_u64 v[4:5], v[4:5], 2, s[6:7]
	global_load_dword v52, v[4:5], off
	v_add_u32_e32 v4, 0xe80, v6
	v_ashrrev_i32_e32 v5, 31, v4
	v_lshl_add_u64 v[4:5], v[4:5], 2, s[6:7]
	global_load_dword v53, v[4:5], off
	v_add_u32_e32 v4, 0xf00, v6
	v_ashrrev_i32_e32 v5, 31, v4
	v_lshl_add_u64 v[4:5], v[4:5], 2, s[6:7]
	global_load_dword v64, v[4:5], off
	v_add_u32_e32 v4, 0xf80, v6
	v_ashrrev_i32_e32 v5, 31, v4
	v_lshl_add_u64 v[4:5], v[4:5], 2, s[6:7]
	global_load_dword v65, v[4:5], off
	v_add_u32_e32 v4, 0x1000, v6
	v_ashrrev_i32_e32 v5, 31, v4
	v_lshl_add_u64 v[4:5], v[4:5], 2, s[6:7]
	global_load_dword v56, v[4:5], off
	v_add_u32_e32 v4, 0x1080, v6
	v_ashrrev_i32_e32 v5, 31, v4
	v_lshl_add_u64 v[4:5], v[4:5], 2, s[6:7]
	global_load_dword v57, v[4:5], off
	v_add_u32_e32 v4, 0x1100, v6
	v_ashrrev_i32_e32 v5, 31, v4
	v_lshl_add_u64 v[4:5], v[4:5], 2, s[6:7]
	global_load_dword v30, v[4:5], off
	v_add_u32_e32 v4, 0x1180, v6
	v_ashrrev_i32_e32 v5, 31, v4
	v_lshl_add_u64 v[4:5], v[4:5], 2, s[6:7]
	global_load_dword v31, v[4:5], off
	v_add_u32_e32 v4, 0x1200, v6
	v_ashrrev_i32_e32 v5, 31, v4
	v_lshl_add_u64 v[4:5], v[4:5], 2, s[6:7]
	global_load_dword v60, v[4:5], off
	v_add_u32_e32 v4, 0x1280, v6
	v_ashrrev_i32_e32 v5, 31, v4
	v_lshl_add_u64 v[4:5], v[4:5], 2, s[6:7]
	global_load_dword v61, v[4:5], off
	v_add_u32_e32 v4, 0x1300, v6
	v_ashrrev_i32_e32 v5, 31, v4
	v_lshl_add_u64 v[4:5], v[4:5], 2, s[6:7]
	global_load_dword v62, v[4:5], off
	v_add_u32_e32 v4, 0x1380, v6
	v_ashrrev_i32_e32 v5, 31, v4
	v_lshl_add_u64 v[4:5], v[4:5], 2, s[6:7]
	global_load_dword v63, v[4:5], off
	v_add_u32_e32 v4, 0x1400, v6
	v_ashrrev_i32_e32 v5, 31, v4
	v_lshl_add_u64 v[4:5], v[4:5], 2, s[6:7]
	global_load_dword v74, v[4:5], off
	v_add_u32_e32 v4, 0x1480, v6
	v_ashrrev_i32_e32 v5, 31, v4
	v_lshl_add_u64 v[4:5], v[4:5], 2, s[6:7]
	global_load_dword v75, v[4:5], off
	v_add_u32_e32 v4, 0x1500, v6
	v_ashrrev_i32_e32 v5, 31, v4
	v_lshl_add_u64 v[4:5], v[4:5], 2, s[6:7]
	global_load_dword v66, v[4:5], off
	v_add_u32_e32 v4, 0x1580, v6
	v_ashrrev_i32_e32 v5, 31, v4
	v_lshl_add_u64 v[4:5], v[4:5], 2, s[6:7]
	global_load_dword v67, v[4:5], off
	v_add_u32_e32 v4, 0x1600, v6
	v_ashrrev_i32_e32 v5, 31, v4
	v_lshl_add_u64 v[4:5], v[4:5], 2, s[6:7]
	global_load_dword v34, v[4:5], off
	v_add_u32_e32 v4, 0x1680, v6
	v_ashrrev_i32_e32 v5, 31, v4
	v_lshl_add_u64 v[4:5], v[4:5], 2, s[6:7]
	global_load_dword v35, v[4:5], off
	v_add_u32_e32 v4, 0x1700, v6
	v_ashrrev_i32_e32 v5, 31, v4
	v_lshl_add_u64 v[4:5], v[4:5], 2, s[6:7]
	global_load_dword v70, v[4:5], off
	v_add_u32_e32 v4, 0x1780, v6
	v_ashrrev_i32_e32 v5, 31, v4
	v_lshl_add_u64 v[4:5], v[4:5], 2, s[6:7]
	global_load_dword v71, v[4:5], off
	v_add_u32_e32 v4, 0x1800, v6
	v_ashrrev_i32_e32 v5, 31, v4
	v_lshl_add_u64 v[4:5], v[4:5], 2, s[6:7]
	global_load_dword v72, v[4:5], off
	v_add_u32_e32 v4, 0x1880, v6
	v_ashrrev_i32_e32 v5, 31, v4
	v_lshl_add_u64 v[4:5], v[4:5], 2, s[6:7]
	global_load_dword v73, v[4:5], off
	v_add_u32_e32 v4, 0x1900, v6
	v_ashrrev_i32_e32 v5, 31, v4
	v_lshl_add_u64 v[4:5], v[4:5], 2, s[6:7]
	global_load_dword v84, v[4:5], off
	v_add_u32_e32 v4, 0x1980, v6
	v_ashrrev_i32_e32 v5, 31, v4
	v_lshl_add_u64 v[4:5], v[4:5], 2, s[6:7]
	global_load_dword v85, v[4:5], off
	v_add_u32_e32 v4, 0x1a00, v6
	v_ashrrev_i32_e32 v5, 31, v4
	v_lshl_add_u64 v[4:5], v[4:5], 2, s[6:7]
	global_load_dword v76, v[4:5], off
	v_add_u32_e32 v4, 0x1a80, v6
	v_ashrrev_i32_e32 v5, 31, v4
	v_lshl_add_u64 v[4:5], v[4:5], 2, s[6:7]
	global_load_dword v77, v[4:5], off
	v_add_u32_e32 v4, 0x1b00, v6
	v_ashrrev_i32_e32 v5, 31, v4
	v_lshl_add_u64 v[4:5], v[4:5], 2, s[6:7]
	global_load_dword v78, v[4:5], off
	v_add_u32_e32 v4, 0x1b80, v6
	v_ashrrev_i32_e32 v5, 31, v4
	v_lshl_add_u64 v[4:5], v[4:5], 2, s[6:7]
	global_load_dword v79, v[4:5], off
	v_add_u32_e32 v4, 0x1c00, v6
	v_ashrrev_i32_e32 v5, 31, v4
	v_lshl_add_u64 v[4:5], v[4:5], 2, s[6:7]
	global_load_dword v80, v[4:5], off
	v_add_u32_e32 v4, 0x1c80, v6
	v_ashrrev_i32_e32 v5, 31, v4
	v_lshl_add_u64 v[4:5], v[4:5], 2, s[6:7]
	global_load_dword v81, v[4:5], off
	v_add_u32_e32 v4, 0x1d00, v6
	v_ashrrev_i32_e32 v5, 31, v4
	v_lshl_add_u64 v[4:5], v[4:5], 2, s[6:7]
	global_load_dword v82, v[4:5], off
	v_add_u32_e32 v4, 0x1d80, v6
	v_ashrrev_i32_e32 v5, 31, v4
	v_lshl_add_u64 v[4:5], v[4:5], 2, s[6:7]
	global_load_dword v83, v[4:5], off
	v_add_u32_e32 v4, 0x1e00, v6
	v_ashrrev_i32_e32 v5, 31, v4
	v_lshl_add_u64 v[4:5], v[4:5], 2, s[6:7]
	global_load_dword v94, v[4:5], off
	v_add_u32_e32 v4, 0x1e80, v6
	v_ashrrev_i32_e32 v5, 31, v4
	v_lshl_add_u64 v[4:5], v[4:5], 2, s[6:7]
	global_load_dword v95, v[4:5], off
	v_add_u32_e32 v4, 0x1f00, v6
	v_ashrrev_i32_e32 v5, 31, v4
	v_lshl_add_u64 v[4:5], v[4:5], 2, s[6:7]
	global_load_dword v86, v[4:5], off
	v_add_u32_e32 v4, 0x1f80, v6
	v_ashrrev_i32_e32 v5, 31, v4
	v_lshl_add_u64 v[4:5], v[4:5], 2, s[6:7]
	global_load_dword v87, v[4:5], off
	v_add_u32_e32 v4, 0x2000, v6
	v_ashrrev_i32_e32 v5, 31, v4
	v_lshl_add_u64 v[4:5], v[4:5], 2, s[6:7]
	global_load_dword v88, v[4:5], off
	v_add_u32_e32 v4, 0x2080, v6
	v_ashrrev_i32_e32 v5, 31, v4
	v_lshl_add_u64 v[4:5], v[4:5], 2, s[6:7]
	global_load_dword v89, v[4:5], off
	v_add_u32_e32 v4, 0x2100, v6
	v_ashrrev_i32_e32 v5, 31, v4
	v_lshl_add_u64 v[4:5], v[4:5], 2, s[6:7]
	global_load_dword v90, v[4:5], off
	v_add_u32_e32 v4, 0x2180, v6
	v_ashrrev_i32_e32 v5, 31, v4
	v_lshl_add_u64 v[4:5], v[4:5], 2, s[6:7]
	global_load_dword v91, v[4:5], off
	v_add_u32_e32 v4, 0x2200, v6
	v_ashrrev_i32_e32 v5, 31, v4
	v_lshl_add_u64 v[4:5], v[4:5], 2, s[6:7]
	global_load_dword v92, v[4:5], off
	v_add_u32_e32 v4, 0x2280, v6
	v_ashrrev_i32_e32 v5, 31, v4
	v_lshl_add_u64 v[4:5], v[4:5], 2, s[6:7]
	global_load_dword v93, v[4:5], off
	v_add_u32_e32 v4, 0x2300, v6
	v_ashrrev_i32_e32 v5, 31, v4
	v_lshl_add_u64 v[4:5], v[4:5], 2, s[6:7]
	global_load_dword v104, v[4:5], off
	v_add_u32_e32 v4, 0x2380, v6
	v_ashrrev_i32_e32 v5, 31, v4
	v_lshl_add_u64 v[4:5], v[4:5], 2, s[6:7]
	global_load_dword v105, v[4:5], off
	v_add_u32_e32 v4, 0x2400, v6
	v_ashrrev_i32_e32 v5, 31, v4
	v_lshl_add_u64 v[4:5], v[4:5], 2, s[6:7]
	global_load_dword v96, v[4:5], off
	v_add_u32_e32 v4, 0x2480, v6
	v_ashrrev_i32_e32 v5, 31, v4
	v_lshl_add_u64 v[4:5], v[4:5], 2, s[6:7]
	global_load_dword v97, v[4:5], off
	v_add_u32_e32 v4, 0x2500, v6
	v_ashrrev_i32_e32 v5, 31, v4
	v_lshl_add_u64 v[4:5], v[4:5], 2, s[6:7]
	global_load_dword v98, v[4:5], off
	v_add_u32_e32 v4, 0x2580, v6
	v_ashrrev_i32_e32 v5, 31, v4
	v_lshl_add_u64 v[4:5], v[4:5], 2, s[6:7]
	global_load_dword v99, v[4:5], off
	v_add_u32_e32 v4, 0x2600, v6
	v_ashrrev_i32_e32 v5, 31, v4
	v_lshl_add_u64 v[4:5], v[4:5], 2, s[6:7]
	global_load_dword v100, v[4:5], off
	v_add_u32_e32 v4, 0x2680, v6
	v_ashrrev_i32_e32 v5, 31, v4
	v_lshl_add_u64 v[4:5], v[4:5], 2, s[6:7]
	global_load_dword v101, v[4:5], off
	v_add_u32_e32 v4, 0x2700, v6
	v_ashrrev_i32_e32 v5, 31, v4
	v_lshl_add_u64 v[4:5], v[4:5], 2, s[6:7]
	global_load_dword v102, v[4:5], off
	v_add_u32_e32 v4, 0x2780, v6
	v_ashrrev_i32_e32 v5, 31, v4
	v_lshl_add_u64 v[4:5], v[4:5], 2, s[6:7]
	global_load_dword v103, v[4:5], off
	v_add_u32_e32 v4, 0x2800, v6
	v_ashrrev_i32_e32 v5, 31, v4
	v_lshl_add_u64 v[4:5], v[4:5], 2, s[6:7]
	global_load_dword v114, v[4:5], off
	v_add_u32_e32 v4, 0x2880, v6
	v_ashrrev_i32_e32 v5, 31, v4
	v_lshl_add_u64 v[4:5], v[4:5], 2, s[6:7]
	global_load_dword v115, v[4:5], off
	v_add_u32_e32 v4, 0x2900, v6
	v_ashrrev_i32_e32 v5, 31, v4
	v_lshl_add_u64 v[4:5], v[4:5], 2, s[6:7]
	global_load_dword v106, v[4:5], off
	v_add_u32_e32 v4, 0x2980, v6
	v_ashrrev_i32_e32 v5, 31, v4
	v_lshl_add_u64 v[4:5], v[4:5], 2, s[6:7]
	global_load_dword v107, v[4:5], off
	v_add_u32_e32 v4, 0x2a00, v6
	v_ashrrev_i32_e32 v5, 31, v4
	v_lshl_add_u64 v[4:5], v[4:5], 2, s[6:7]
	global_load_dword v108, v[4:5], off
	v_add_u32_e32 v4, 0x2a80, v6
	v_ashrrev_i32_e32 v5, 31, v4
	v_lshl_add_u64 v[4:5], v[4:5], 2, s[6:7]
	global_load_dword v109, v[4:5], off
	v_add_u32_e32 v4, 0x2b00, v6
	v_ashrrev_i32_e32 v5, 31, v4
	v_lshl_add_u64 v[4:5], v[4:5], 2, s[6:7]
	global_load_dword v110, v[4:5], off
	v_add_u32_e32 v4, 0x2b80, v6
	v_ashrrev_i32_e32 v5, 31, v4
	v_lshl_add_u64 v[4:5], v[4:5], 2, s[6:7]
	global_load_dword v111, v[4:5], off
	v_add_u32_e32 v4, 0x2c00, v6
	v_ashrrev_i32_e32 v5, 31, v4
	v_lshl_add_u64 v[4:5], v[4:5], 2, s[6:7]
	global_load_dword v112, v[4:5], off
	v_add_u32_e32 v4, 0x2c80, v6
	v_ashrrev_i32_e32 v5, 31, v4
	v_lshl_add_u64 v[4:5], v[4:5], 2, s[6:7]
	global_load_dword v113, v[4:5], off
	v_add_u32_e32 v4, 0x2d00, v6
	v_ashrrev_i32_e32 v5, 31, v4
	v_lshl_add_u64 v[4:5], v[4:5], 2, s[6:7]
	global_load_dword v124, v[4:5], off
	v_add_u32_e32 v4, 0x2d80, v6
	v_ashrrev_i32_e32 v5, 31, v4
	v_lshl_add_u64 v[4:5], v[4:5], 2, s[6:7]
	global_load_dword v125, v[4:5], off
	v_add_u32_e32 v4, 0x2e00, v6
	v_ashrrev_i32_e32 v5, 31, v4
	v_lshl_add_u64 v[4:5], v[4:5], 2, s[6:7]
	global_load_dword v116, v[4:5], off
	v_add_u32_e32 v4, 0x2e80, v6
	v_ashrrev_i32_e32 v5, 31, v4
	v_lshl_add_u64 v[4:5], v[4:5], 2, s[6:7]
	global_load_dword v117, v[4:5], off
	v_add_u32_e32 v4, 0x2f00, v6
	v_ashrrev_i32_e32 v5, 31, v4
	v_lshl_add_u64 v[4:5], v[4:5], 2, s[6:7]
	global_load_dword v118, v[4:5], off
	v_add_u32_e32 v4, 0x2f80, v6
	v_ashrrev_i32_e32 v5, 31, v4
	v_lshl_add_u64 v[4:5], v[4:5], 2, s[6:7]
	global_load_dword v119, v[4:5], off
	v_add_u32_e32 v4, 0x3000, v6
	v_ashrrev_i32_e32 v5, 31, v4
	v_lshl_add_u64 v[4:5], v[4:5], 2, s[6:7]
	global_load_dword v24, v[4:5], off
	v_add_u32_e32 v4, 0x3080, v6
	v_ashrrev_i32_e32 v5, 31, v4
	v_lshl_add_u64 v[4:5], v[4:5], 2, s[6:7]
	global_load_dword v25, v[4:5], off
	v_add_u32_e32 v4, 0x3100, v6
	v_ashrrev_i32_e32 v5, 31, v4
	v_lshl_add_u64 v[4:5], v[4:5], 2, s[6:7]
	global_load_dword v58, v[4:5], off
	v_add_u32_e32 v4, 0x3180, v6
	v_ashrrev_i32_e32 v5, 31, v4
	v_lshl_add_u64 v[4:5], v[4:5], 2, s[6:7]
	global_load_dword v59, v[4:5], off
	v_add_u32_e32 v4, 0x3200, v6
	v_ashrrev_i32_e32 v5, 31, v4
	v_lshl_add_u64 v[4:5], v[4:5], 2, s[6:7]
	global_load_dword v42, v[4:5], off
	v_add_u32_e32 v4, 0x3280, v6
	v_ashrrev_i32_e32 v5, 31, v4
	v_lshl_add_u64 v[4:5], v[4:5], 2, s[6:7]
	global_load_dword v43, v[4:5], off
	v_add_u32_e32 v4, 0x3300, v6
	v_ashrrev_i32_e32 v5, 31, v4
	v_lshl_add_u64 v[4:5], v[4:5], 2, s[6:7]
	global_load_dword v44, v[4:5], off
	v_add_u32_e32 v4, 0x3380, v6
	v_ashrrev_i32_e32 v5, 31, v4
	v_lshl_add_u64 v[4:5], v[4:5], 2, s[6:7]
	global_load_dword v45, v[4:5], off
	v_add_u32_e32 v4, 0x3400, v6
	v_ashrrev_i32_e32 v5, 31, v4
	v_lshl_add_u64 v[4:5], v[4:5], 2, s[6:7]
	global_load_dword v120, v[4:5], off
	v_add_u32_e32 v4, 0x3480, v6
	v_ashrrev_i32_e32 v5, 31, v4
	v_lshl_add_u64 v[4:5], v[4:5], 2, s[6:7]
	global_load_dword v121, v[4:5], off
	v_add_u32_e32 v4, 0x3500, v6
	v_ashrrev_i32_e32 v5, 31, v4
	v_lshl_add_u64 v[4:5], v[4:5], 2, s[6:7]
	global_load_dword v46, v[4:5], off
	v_add_u32_e32 v4, 0x3580, v6
	v_ashrrev_i32_e32 v5, 31, v4
	v_lshl_add_u64 v[4:5], v[4:5], 2, s[6:7]
	global_load_dword v47, v[4:5], off
	v_add_u32_e32 v4, 0x3600, v6
	v_ashrrev_i32_e32 v5, 31, v4
	v_lshl_add_u64 v[4:5], v[4:5], 2, s[6:7]
	global_load_dword v48, v[4:5], off
	v_add_u32_e32 v4, 0x3680, v6
	v_ashrrev_i32_e32 v5, 31, v4
	v_lshl_add_u64 v[4:5], v[4:5], 2, s[6:7]
	global_load_dword v49, v[4:5], off
	v_add_u32_e32 v4, 0x3700, v6
	v_ashrrev_i32_e32 v5, 31, v4
	v_lshl_add_u64 v[4:5], v[4:5], 2, s[6:7]
	global_load_dword v126, v[4:5], off
	v_add_u32_e32 v4, 0x3780, v6
	v_ashrrev_i32_e32 v5, 31, v4
	v_lshl_add_u64 v[4:5], v[4:5], 2, s[6:7]
	global_load_dword v127, v[4:5], off
	v_add_u32_e32 v4, 0x3800, v6
	v_ashrrev_i32_e32 v5, 31, v4
	v_lshl_add_u64 v[4:5], v[4:5], 2, s[6:7]
	global_load_dword v68, v[4:5], off
	v_add_u32_e32 v4, 0x3880, v6
	v_ashrrev_i32_e32 v5, 31, v4
	v_lshl_add_u64 v[4:5], v[4:5], 2, s[6:7]
	global_load_dword v69, v[4:5], off
	v_add_u32_e32 v4, 0x3900, v6
	v_ashrrev_i32_e32 v5, 31, v4
	v_lshl_add_u64 v[4:5], v[4:5], 2, s[6:7]
	global_load_dword v16, v[4:5], off
	v_add_u32_e32 v4, 0x3980, v6
	v_ashrrev_i32_e32 v5, 31, v4
	v_lshl_add_u64 v[4:5], v[4:5], 2, s[6:7]
	global_load_dword v17, v[4:5], off
	v_add_u32_e32 v4, 0x3a00, v6
	v_ashrrev_i32_e32 v5, 31, v4
	v_lshl_add_u64 v[4:5], v[4:5], 2, s[6:7]
	global_load_dword v18, v[4:5], off
	v_add_u32_e32 v4, 0x3a80, v6
	v_ashrrev_i32_e32 v5, 31, v4
	v_lshl_add_u64 v[4:5], v[4:5], 2, s[6:7]
	global_load_dword v19, v[4:5], off
	v_add_u32_e32 v4, 0x3b00, v6
	v_ashrrev_i32_e32 v5, 31, v4
	v_lshl_add_u64 v[4:5], v[4:5], 2, s[6:7]
	global_load_dword v20, v[4:5], off
	v_add_u32_e32 v4, 0x3b80, v6
	v_ashrrev_i32_e32 v5, 31, v4
	v_lshl_add_u64 v[4:5], v[4:5], 2, s[6:7]
	global_load_dword v21, v[4:5], off
	v_add_u32_e32 v4, 0x3c00, v6
	v_ashrrev_i32_e32 v5, 31, v4
	v_lshl_add_u64 v[4:5], v[4:5], 2, s[6:7]
	s_waitcnt vmcnt(62)
	scratch_store_dwordx2 off, v[12:13], off offset:32 ; 8-byte Folded Spill
	global_load_dword v12, v[4:5], off
	v_add_u32_e32 v4, 0x3c80, v6
	v_ashrrev_i32_e32 v5, 31, v4
	v_lshl_add_u64 v[4:5], v[4:5], 2, s[6:7]
	global_load_dword v13, v[4:5], off
	v_add_u32_e32 v4, 0x3d00, v6
	v_ashrrev_i32_e32 v5, 31, v4
	v_lshl_add_u64 v[4:5], v[4:5], 2, s[6:7]
	s_waitcnt vmcnt(0)
	scratch_store_dwordx2 off, v[12:13], off ; 8-byte Folded Spill
	global_load_dword v12, v[4:5], off
	v_add_u32_e32 v4, 0x3d80, v6
	v_ashrrev_i32_e32 v5, 31, v4
	v_lshl_add_u64 v[4:5], v[4:5], 2, s[6:7]
	global_load_dword v13, v[4:5], off
	v_add_u32_e32 v4, 0x3e00, v6
	v_ashrrev_i32_e32 v5, 31, v4
	v_lshl_add_u64 v[4:5], v[4:5], 2, s[6:7]
	s_waitcnt vmcnt(0)
	scratch_store_dwordx2 off, v[12:13], off offset:96 ; 8-byte Folded Spill
	global_load_dword v12, v[4:5], off
	v_add_u32_e32 v4, 0x3e80, v6
	v_ashrrev_i32_e32 v5, 31, v4
	v_lshl_add_u64 v[4:5], v[4:5], 2, s[6:7]
	global_load_dword v13, v[4:5], off
	v_add_u32_e32 v4, 0x3f00, v6
	v_ashrrev_i32_e32 v5, 31, v4
	v_lshl_add_u64 v[4:5], v[4:5], 2, s[6:7]
	s_waitcnt vmcnt(0)
	scratch_store_dwordx2 off, v[12:13], off offset:104 ; 8-byte Folded Spill
	global_load_dword v12, v[4:5], off
	v_add_u32_e32 v4, 0x3f80, v6
	v_ashrrev_i32_e32 v5, 31, v4
	v_lshl_add_u64 v[4:5], v[4:5], 2, s[6:7]
	global_load_dword v13, v[4:5], off
	s_abs_i32 s6, s20
	v_cvt_f32_u32_e32 v1, s6
	v_lshl_add_u32 v4, s1, 7, v0
	v_ashrrev_i32_e32 v5, 31, v4
	v_lshl_add_u64 v[2:3], v[4:5], 2, v[2:3]
	v_rcp_iflag_f32_e32 v1, v1
	s_sub_i32 s7, 0, s6
	v_lshlrev_b32_e32 v0, 2, v0
	v_mul_f32_e32 v1, 0x4f7ffffe, v1
	v_cvt_u32_f32_e32 v1, v1
	s_waitcnt vmcnt(0)
	scratch_store_dwordx2 off, v[12:13], off offset:8 ; 8-byte Folded Spill
	v_readfirstlane_b32 s10, v1
	s_barrier
	global_load_dword v1, v[2:3], off
	s_mul_i32 s7, s7, s10
	s_mul_hi_u32 s7, s10, s7
	s_add_i32 s10, s10, s7
	s_mul_hi_u32 s7, s3, s10
	s_mul_i32 s10, s7, s6
	s_sub_i32 s3, s3, s10
	s_add_i32 s10, s7, 1
	s_sub_i32 s11, s3, s6
	s_cmp_ge_u32 s3, s6
	s_cselect_b32 s7, s10, s7
	s_cselect_b32 s3, s11, s3
	s_add_i32 s10, s7, 1
	s_cmp_ge_u32 s3, s6
	s_cselect_b32 s3, s10, s7
	s_xor_b32 s3, s3, s2
	s_sub_i32 s2, s3, s2
	s_mul_i32 s1, s2, s22
	s_mul_i32 s2, s1, s0
	s_add_i32 s0, s0, 1
	s_mul_i32 s1, s1, s0
	v_add_u32_e32 v12, s2, v4
	scratch_store_dword off, v0, off offset:152 ; 4-byte Folded Spill
	s_waitcnt vmcnt(1)
	ds_write_b32 v0, v1 offset:1536
	v_add_u32_e32 v1, s1, v4
	v_cmp_lt_i32_e32 vcc, v12, v1
	s_waitcnt lgkmcnt(0)
	s_barrier
	s_and_saveexec_b64 s[0:1], vcc
	s_cbranch_execz .LBB1_4
; %bb.1:
	scratch_load_dword v0, off, off offset:152 ; 4-byte Folded Reload
	v_ashrrev_i32_e32 v13, 31, v12
	scratch_store_dwordx2 off, v[6:7], off offset:168 ; 8-byte Folded Spill
	s_ashr_i32 s23, s22, 31
	s_lshl_b64 s[6:7], s[22:23], 2
	s_mov_b64 s[2:3], 0
	v_mov_b64_e32 v[36:37], v[20:21]
	s_waitcnt vmcnt(1)
	v_add_u32_e32 v2, 0x200, v0
	v_add_u32_e32 v0, 0x400, v0
	scratch_store_dword off, v2, off offset:160 ; 4-byte Folded Spill
	scratch_store_dword off, v0, off offset:164 ; 4-byte Folded Spill
	scratch_store_dwordx2 off, v[8:9], off offset:80 ; 8-byte Folded Spill
	scratch_store_dwordx2 off, v[10:11], off offset:88 ; 8-byte Folded Spill
	;; [unrolled: 1-line block ×4, first 2 shown]
	scratch_load_dwordx2 v[38:39], off, off ; 8-byte Folded Reload
	scratch_load_dwordx2 v[40:41], off, off offset:96 ; 8-byte Folded Reload
	scratch_load_dwordx2 v[54:55], off, off offset:104 ; 8-byte Folded Reload
	;; [unrolled: 1-line block ×3, first 2 shown]
	v_lshlrev_b64 v[2:3], 2, v[12:13]
	v_mov_b32_e32 v13, 0
	scratch_store_dword off, v1, off offset:156 ; 4-byte Folded Spill
.LBB1_2:                                ; =>This Inner Loop Header: Depth=1
	v_lshl_add_u64 v[0:1], s[12:13], 0, v[2:3]
	s_waitcnt vmcnt(1)
	scratch_store_dwordx2 off, v[8:9], off offset:8 ; 8-byte Folded Spill
	scratch_store_dwordx2 off, v[36:37], off offset:144 ; 8-byte Folded Spill
	scratch_store_dwordx2 off, v[2:3], off  ; 8-byte Folded Spill
	scratch_store_dwordx2 off, v[68:69], off offset:136 ; 8-byte Folded Spill
	scratch_store_dwordx2 off, v[34:35], off offset:128 ; 8-byte Folded Spill
	;; [unrolled: 1-line block ×6, first 2 shown]
	s_barrier
	global_load_dword v0, v[0:1], off
	s_nop 0
	scratch_load_dword v1, off, off offset:152 ; 4-byte Folded Reload
	v_mov_b64_e32 v[22:23], v[54:55]
	v_mov_b64_e32 v[54:55], v[40:41]
	;; [unrolled: 1-line block ×3, first 2 shown]
	v_add_u32_e32 v12, s22, v12
	s_waitcnt vmcnt(0)
	ds_write_b32 v1, v0
	v_lshl_add_u64 v[0:1], s[16:17], 0, v[2:3]
	global_load_dword v0, v[0:1], off
	s_nop 0
	scratch_load_dword v1, off, off offset:160 ; 4-byte Folded Reload
	s_waitcnt vmcnt(0)
	ds_write_b32 v1, v0
	v_lshl_add_u64 v[0:1], s[4:5], 0, v[2:3]
	global_load_dword v0, v[0:1], off
	s_nop 0
	scratch_load_dword v1, off, off offset:164 ; 4-byte Folded Reload
	s_waitcnt vmcnt(0)
	ds_write_b32 v1, v0
	v_lshl_add_u64 v[0:1], s[14:15], 0, v[2:3]
	s_waitcnt lgkmcnt(0)
	s_barrier
	global_load_dword v16, v[0:1], off
	ds_read_b128 v[18:21], v13 offset:512
	v_mov_b64_e32 v[2:3], v[126:127]
	v_mov_b64_e32 v[126:127], v[116:117]
	;; [unrolled: 1-line block ×9, first 2 shown]
	ds_read_b128 v[26:29], v13 offset:1536
	v_mov_b64_e32 v[0:1], v[32:33]
	ds_read_b128 v[30:33], v13
	ds_read_b128 v[8:11], v13 offset:16
	ds_read_b128 v[4:7], v13 offset:32
	scratch_load_dwordx2 v[40:41], off, off offset:88 ; 8-byte Folded Reload
	ds_read_b128 v[46:49], v13 offset:48
	ds_read_b128 v[34:37], v13 offset:1024
	s_waitcnt vmcnt(1) lgkmcnt(4)
	v_pk_mul_f32 v[30:31], v[16:17], v[30:31] op_sel_hi:[0,1]
	s_waitcnt vmcnt(0)
	v_mov_b32_e32 v17, v40
	v_fmac_f32_e32 v17, v30, v26
	v_fma_f32 v17, v18, v17, 0
	v_mov_b32_e32 v18, v41
	v_fmac_f32_e32 v18, v31, v27
	s_waitcnt lgkmcnt(0)
	v_pk_fma_f32 v[40:41], v[40:41], v[34:35], v[30:31]
	scratch_load_dwordx2 v[34:35], off, off offset:16 ; 8-byte Folded Reload
	scratch_load_dwordx2 v[30:31], off, off offset:80 ; 8-byte Folded Reload
	v_fmac_f32_e32 v17, v19, v18
	v_pk_mul_f32 v[18:19], v[16:17], v[32:33] op_sel_hi:[0,1]
	scratch_store_dwordx2 off, v[40:41], off offset:88 ; 8-byte Folded Spill
	s_waitcnt vmcnt(1)
	v_mov_b32_e32 v26, v30
	v_fmac_f32_e32 v26, v18, v28
	v_fmac_f32_e32 v17, v20, v26
	v_mov_b32_e32 v20, v31
	v_pk_fma_f32 v[30:31], v[30:31], v[36:37], v[18:19]
	scratch_store_dwordx2 off, v[30:31], off offset:80 ; 8-byte Folded Spill
	scratch_load_dwordx2 v[36:37], off, off offset:24 ; 8-byte Folded Reload
	scratch_load_dwordx2 v[40:41], off, off offset:32 ; 8-byte Folded Reload
	v_fmac_f32_e32 v20, v19, v29
	v_fmac_f32_e32 v17, v21, v20
	ds_read_b128 v[18:21], v13 offset:528
	ds_read_b128 v[26:29], v13 offset:1552
	v_pk_mul_f32 v[8:9], v[16:17], v[8:9] op_sel_hi:[0,1]
	s_waitcnt vmcnt(1)
	v_mov_b32_e32 v30, v36
	s_waitcnt lgkmcnt(0)
	v_fmac_f32_e32 v30, v8, v26
	v_fmac_f32_e32 v17, v18, v30
	ds_read_b128 v[30:33], v13 offset:1040
	v_mov_b32_e32 v18, v37
	v_fmac_f32_e32 v18, v9, v27
	v_fmac_f32_e32 v17, v19, v18
	s_waitcnt lgkmcnt(0)
	v_pk_fma_f32 v[36:37], v[36:37], v[30:31], v[8:9]
	scratch_store_dwordx2 off, v[36:37], off offset:24 ; 8-byte Folded Spill
	scratch_load_dwordx2 v[30:31], off, off offset:40 ; 8-byte Folded Reload
	s_nop 0
	scratch_load_dwordx2 v[36:37], off, off offset:48 ; 8-byte Folded Reload
	v_pk_mul_f32 v[8:9], v[16:17], v[10:11] op_sel_hi:[0,1]
	v_mov_b32_e32 v10, v34
	v_fmac_f32_e32 v10, v8, v28
	v_fmac_f32_e32 v17, v20, v10
	v_mov_b32_e32 v10, v35
	v_pk_fma_f32 v[34:35], v[34:35], v[32:33], v[8:9]
	v_fmac_f32_e32 v10, v9, v29
	scratch_store_dwordx2 off, v[34:35], off offset:16 ; 8-byte Folded Spill
	v_fmac_f32_e32 v17, v21, v10
	ds_read_b128 v[8:11], v13 offset:544
	ds_read_b128 v[18:21], v13 offset:1568
	v_pk_mul_f32 v[4:5], v[16:17], v[4:5] op_sel_hi:[0,1]
	scratch_load_dwordx2 v[14:15], off, off offset:56 ; 8-byte Folded Reload
	v_mov_b64_e32 v[32:33], v[0:1]
	s_waitcnt vmcnt(3)
	v_mov_b32_e32 v26, v30
	s_waitcnt lgkmcnt(0)
	v_fmac_f32_e32 v26, v4, v18
	v_fmac_f32_e32 v17, v8, v26
	ds_read_b128 v[26:29], v13 offset:1056
	v_mov_b32_e32 v8, v31
	v_fmac_f32_e32 v8, v5, v19
	v_fmac_f32_e32 v17, v9, v8
	s_waitcnt lgkmcnt(0)
	v_pk_fma_f32 v[30:31], v[30:31], v[26:27], v[4:5]
	v_pk_mul_f32 v[4:5], v[16:17], v[6:7] op_sel_hi:[0,1]
	s_waitcnt vmcnt(2)
	v_mov_b32_e32 v6, v36
	v_fmac_f32_e32 v6, v4, v20
	v_fmac_f32_e32 v17, v10, v6
	v_mov_b32_e32 v6, v37
	v_pk_fma_f32 v[36:37], v[36:37], v[28:29], v[4:5]
	scratch_store_dwordx2 off, v[30:31], off offset:40 ; 8-byte Folded Spill
	scratch_store_dwordx2 off, v[36:37], off offset:48 ; 8-byte Folded Spill
	scratch_load_dwordx2 v[36:37], off, off offset:112 ; 8-byte Folded Reload
	s_nop 0
	scratch_load_dwordx2 v[28:29], off, off offset:96 ; 8-byte Folded Reload
	scratch_load_dwordx2 v[34:35], off, off offset:128 ; 8-byte Folded Reload
	;; [unrolled: 1-line block ×3, first 2 shown]
	v_fmac_f32_e32 v6, v5, v21
	v_fmac_f32_e32 v17, v11, v6
	ds_read_b128 v[4:7], v13 offset:560
	ds_read_b128 v[8:11], v13 offset:1584
	v_pk_mul_f32 v[0:1], v[16:17], v[46:47] op_sel_hi:[0,1]
	s_waitcnt vmcnt(6)
	v_mov_b32_e32 v18, v14
	v_mov_b64_e32 v[26:27], v[56:57]
	v_mov_b64_e32 v[56:57], v[66:67]
	s_waitcnt lgkmcnt(0)
	v_fmac_f32_e32 v18, v0, v8
	v_fmac_f32_e32 v17, v4, v18
	ds_read_b128 v[18:21], v13 offset:1072
	v_mov_b32_e32 v4, v15
	v_fmac_f32_e32 v4, v1, v9
	v_fmac_f32_e32 v17, v5, v4
	v_mov_b64_e32 v[66:67], v[76:77]
	v_mov_b64_e32 v[76:77], v[86:87]
	;; [unrolled: 1-line block ×7, first 2 shown]
	s_waitcnt lgkmcnt(0)
	v_pk_fma_f32 v[14:15], v[14:15], v[18:19], v[0:1]
	v_pk_mul_f32 v[0:1], v[16:17], v[48:49] op_sel_hi:[0,1]
	scratch_store_dwordx2 off, v[14:15], off offset:56 ; 8-byte Folded Spill
	v_mov_b64_e32 v[46:47], v[68:69]
	scratch_load_dwordx2 v[68:69], off, off offset:136 ; 8-byte Folded Reload
	scratch_load_dwordx2 v[48:49], off, off offset:120 ; 8-byte Folded Reload
	v_mov_b32_e32 v18, v32
	s_waitcnt vmcnt(6)
	v_mov_b32_e32 v2, v36
	v_fmac_f32_e32 v2, v0, v10
	v_fmac_f32_e32 v17, v6, v2
	v_mov_b32_e32 v2, v37
	v_fmac_f32_e32 v2, v1, v11
	v_fmac_f32_e32 v17, v7, v2
	v_pk_fma_f32 v[14:15], v[36:37], v[20:21], v[0:1]
	ds_read_b128 v[0:3], v13 offset:576
	ds_read_b128 v[4:7], v13 offset:1600
	;; [unrolled: 1-line block ×3, first 2 shown]
	s_waitcnt lgkmcnt(0)
	v_pk_mul_f32 v[8:9], v[16:17], v[8:9] op_sel_hi:[0,1]
	v_fmac_f32_e32 v18, v8, v4
	v_fmac_f32_e32 v17, v0, v18
	v_mov_b32_e32 v0, v33
	v_fmac_f32_e32 v0, v9, v5
	v_fmac_f32_e32 v17, v1, v0
	ds_read_b128 v[18:21], v13 offset:1088
	v_pk_mul_f32 v[0:1], v[16:17], v[10:11] op_sel_hi:[0,1]
	v_mov_b32_e32 v4, v122
	v_fmac_f32_e32 v4, v0, v6
	v_fmac_f32_e32 v17, v2, v4
	v_mov_b32_e32 v2, v123
	v_fmac_f32_e32 v2, v1, v7
	s_waitcnt lgkmcnt(0)
	v_pk_fma_f32 v[32:33], v[32:33], v[18:19], v[8:9]
	v_fmac_f32_e32 v17, v3, v2
	v_pk_fma_f32 v[122:123], v[122:123], v[20:21], v[0:1]
	ds_read_b128 v[0:3], v13 offset:592
	ds_read_b128 v[4:7], v13 offset:1616
	;; [unrolled: 1-line block ×3, first 2 shown]
	v_mov_b32_e32 v18, v40
	s_waitcnt lgkmcnt(0)
	v_pk_mul_f32 v[8:9], v[16:17], v[8:9] op_sel_hi:[0,1]
	v_fmac_f32_e32 v18, v8, v4
	v_fmac_f32_e32 v17, v0, v18
	v_mov_b32_e32 v0, v41
	ds_read_b128 v[18:21], v13 offset:1104
	v_fmac_f32_e32 v0, v9, v5
	v_fmac_f32_e32 v17, v1, v0
	v_pk_mul_f32 v[0:1], v[16:17], v[10:11] op_sel_hi:[0,1]
	v_mov_b32_e32 v4, v26
	v_fmac_f32_e32 v4, v0, v6
	s_waitcnt lgkmcnt(0)
	v_pk_fma_f32 v[40:41], v[40:41], v[18:19], v[8:9]
	v_fmac_f32_e32 v17, v2, v4
	v_mov_b32_e32 v2, v27
	scratch_store_dwordx2 off, v[40:41], off offset:32 ; 8-byte Folded Spill
	v_fmac_f32_e32 v2, v1, v7
	v_fmac_f32_e32 v17, v3, v2
	v_pk_fma_f32 v[26:27], v[26:27], v[20:21], v[0:1]
	ds_read_b128 v[0:3], v13 offset:608
	ds_read_b128 v[4:7], v13 offset:1632
	;; [unrolled: 1-line block ×3, first 2 shown]
	s_waitcnt vmcnt(6)
	v_mov_b32_e32 v18, v28
	v_mov_b64_e32 v[40:41], v[54:55]
	v_mov_b64_e32 v[54:55], v[22:23]
	s_waitcnt lgkmcnt(0)
	v_pk_mul_f32 v[8:9], v[16:17], v[8:9] op_sel_hi:[0,1]
	v_fmac_f32_e32 v18, v8, v4
	v_fmac_f32_e32 v17, v0, v18
	v_mov_b32_e32 v0, v29
	v_fmac_f32_e32 v0, v9, v5
	v_fmac_f32_e32 v17, v1, v0
	ds_read_b128 v[18:21], v13 offset:1120
	v_pk_mul_f32 v[0:1], v[16:17], v[10:11] op_sel_hi:[0,1]
	v_mov_b32_e32 v4, v50
	v_fmac_f32_e32 v4, v0, v6
	v_fmac_f32_e32 v17, v2, v4
	v_mov_b32_e32 v2, v51
	v_fmac_f32_e32 v2, v1, v7
	s_waitcnt lgkmcnt(0)
	v_pk_fma_f32 v[28:29], v[28:29], v[18:19], v[8:9]
	v_fmac_f32_e32 v17, v3, v2
	v_pk_fma_f32 v[50:51], v[50:51], v[20:21], v[0:1]
	ds_read_b128 v[0:3], v13 offset:624
	ds_read_b128 v[4:7], v13 offset:1648
	ds_read_b128 v[8:11], v13 offset:112
	v_mov_b32_e32 v18, v52
	s_waitcnt lgkmcnt(0)
	v_pk_mul_f32 v[8:9], v[16:17], v[8:9] op_sel_hi:[0,1]
	v_fmac_f32_e32 v18, v8, v4
	v_fmac_f32_e32 v17, v0, v18
	v_mov_b32_e32 v0, v53
	v_fmac_f32_e32 v0, v9, v5
	v_fmac_f32_e32 v17, v1, v0
	ds_read_b128 v[18:21], v13 offset:1136
	v_pk_mul_f32 v[0:1], v[16:17], v[10:11] op_sel_hi:[0,1]
	v_mov_b32_e32 v4, v64
	v_fmac_f32_e32 v4, v0, v6
	v_fmac_f32_e32 v17, v2, v4
	v_mov_b32_e32 v2, v65
	v_fmac_f32_e32 v2, v1, v7
	s_waitcnt lgkmcnt(0)
	v_pk_fma_f32 v[52:53], v[52:53], v[18:19], v[8:9]
	v_fmac_f32_e32 v17, v3, v2
	v_pk_fma_f32 v[64:65], v[64:65], v[20:21], v[0:1]
	ds_read_b128 v[0:3], v13 offset:640
	ds_read_b128 v[4:7], v13 offset:1664
	;; [unrolled: 1-line block ×3, first 2 shown]
	v_mov_b32_e32 v18, v56
	s_waitcnt lgkmcnt(0)
	v_pk_mul_f32 v[8:9], v[16:17], v[8:9] op_sel_hi:[0,1]
	v_fmac_f32_e32 v18, v8, v4
	v_fmac_f32_e32 v17, v0, v18
	v_mov_b32_e32 v0, v57
	v_fmac_f32_e32 v0, v9, v5
	v_fmac_f32_e32 v17, v1, v0
	ds_read_b128 v[18:21], v13 offset:1152
	v_pk_mul_f32 v[0:1], v[16:17], v[10:11] op_sel_hi:[0,1]
	s_waitcnt vmcnt(4)
	v_mov_b32_e32 v4, v30
	v_fmac_f32_e32 v4, v0, v6
	v_fmac_f32_e32 v17, v2, v4
	v_mov_b32_e32 v2, v31
	v_fmac_f32_e32 v2, v1, v7
	s_waitcnt lgkmcnt(0)
	v_pk_fma_f32 v[56:57], v[56:57], v[18:19], v[8:9]
	v_fmac_f32_e32 v17, v3, v2
	v_pk_fma_f32 v[30:31], v[30:31], v[20:21], v[0:1]
	ds_read_b128 v[0:3], v13 offset:656
	ds_read_b128 v[4:7], v13 offset:1680
	ds_read_b128 v[8:11], v13 offset:144
	v_mov_b32_e32 v18, v60
	s_waitcnt lgkmcnt(0)
	v_pk_mul_f32 v[8:9], v[16:17], v[8:9] op_sel_hi:[0,1]
	v_fmac_f32_e32 v18, v8, v4
	v_fmac_f32_e32 v17, v0, v18
	v_mov_b32_e32 v0, v61
	v_fmac_f32_e32 v0, v9, v5
	v_fmac_f32_e32 v17, v1, v0
	ds_read_b128 v[18:21], v13 offset:1168
	v_pk_mul_f32 v[0:1], v[16:17], v[10:11] op_sel_hi:[0,1]
	v_mov_b32_e32 v4, v62
	v_fmac_f32_e32 v4, v0, v6
	v_fmac_f32_e32 v17, v2, v4
	v_mov_b32_e32 v2, v63
	v_fmac_f32_e32 v2, v1, v7
	s_waitcnt lgkmcnt(0)
	v_pk_fma_f32 v[60:61], v[60:61], v[18:19], v[8:9]
	v_fmac_f32_e32 v17, v3, v2
	v_pk_fma_f32 v[62:63], v[62:63], v[20:21], v[0:1]
	ds_read_b128 v[0:3], v13 offset:672
	ds_read_b128 v[4:7], v13 offset:1696
	ds_read_b128 v[8:11], v13 offset:160
	v_mov_b32_e32 v18, v74
	s_waitcnt lgkmcnt(0)
	v_pk_mul_f32 v[8:9], v[16:17], v[8:9] op_sel_hi:[0,1]
	v_fmac_f32_e32 v18, v8, v4
	v_fmac_f32_e32 v17, v0, v18
	v_mov_b32_e32 v0, v75
	v_fmac_f32_e32 v0, v9, v5
	v_fmac_f32_e32 v17, v1, v0
	ds_read_b128 v[18:21], v13 offset:1184
	v_pk_mul_f32 v[0:1], v[16:17], v[10:11] op_sel_hi:[0,1]
	;; [unrolled: 22-line block ×18, first 2 shown]
	v_mov_b32_e32 v4, v46
	v_fmac_f32_e32 v4, v0, v6
	v_fmac_f32_e32 v17, v2, v4
	v_mov_b32_e32 v2, v47
	v_fmac_f32_e32 v2, v1, v7
	s_waitcnt lgkmcnt(0)
	v_pk_fma_f32 v[120:121], v[120:121], v[18:19], v[8:9]
	v_fmac_f32_e32 v17, v3, v2
	v_pk_fma_f32 v[46:47], v[46:47], v[20:21], v[0:1]
	ds_read_b128 v[0:3], v13 offset:944
	ds_read_b128 v[4:7], v13 offset:1968
	;; [unrolled: 1-line block ×3, first 2 shown]
	s_waitcnt vmcnt(1)
	v_mov_b32_e32 v18, v48
	s_waitcnt lgkmcnt(0)
	v_pk_mul_f32 v[8:9], v[16:17], v[8:9] op_sel_hi:[0,1]
	v_fmac_f32_e32 v18, v8, v4
	v_fmac_f32_e32 v17, v0, v18
	v_mov_b32_e32 v0, v49
	v_fmac_f32_e32 v0, v9, v5
	v_fmac_f32_e32 v17, v1, v0
	ds_read_b128 v[18:21], v13 offset:1456
	v_pk_mul_f32 v[0:1], v[16:17], v[10:11] op_sel_hi:[0,1]
	v_mov_b32_e32 v4, v126
	v_fmac_f32_e32 v4, v0, v6
	v_fmac_f32_e32 v17, v2, v4
	v_mov_b32_e32 v2, v127
	v_fmac_f32_e32 v2, v1, v7
	s_waitcnt lgkmcnt(0)
	v_pk_fma_f32 v[48:49], v[48:49], v[18:19], v[8:9]
	v_fmac_f32_e32 v17, v3, v2
	v_pk_fma_f32 v[126:127], v[126:127], v[20:21], v[0:1]
	ds_read_b128 v[0:3], v13 offset:960
	ds_read_b128 v[4:7], v13 offset:1984
	;; [unrolled: 1-line block ×3, first 2 shown]
	v_mov_b32_e32 v18, v68
	s_waitcnt lgkmcnt(0)
	v_pk_mul_f32 v[8:9], v[16:17], v[8:9] op_sel_hi:[0,1]
	v_fmac_f32_e32 v18, v8, v4
	v_fmac_f32_e32 v17, v0, v18
	ds_read_b128 v[18:21], v13 offset:1472
	v_mov_b32_e32 v0, v69
	v_fmac_f32_e32 v0, v9, v5
	v_fmac_f32_e32 v17, v1, v0
	v_pk_mul_f32 v[0:1], v[16:17], v[10:11] op_sel_hi:[0,1]
	s_waitcnt lgkmcnt(0)
	v_pk_fma_f32 v[68:69], v[68:69], v[18:19], v[8:9]
	scratch_load_dwordx2 v[8:9], off, off offset:72 ; 8-byte Folded Reload
	s_waitcnt vmcnt(0)
	v_mov_b32_e32 v4, v8
	v_fmac_f32_e32 v4, v0, v6
	v_fmac_f32_e32 v17, v2, v4
	v_mov_b32_e32 v2, v9
	v_pk_fma_f32 v[8:9], v[8:9], v[20:21], v[0:1]
	v_fmac_f32_e32 v2, v1, v7
	scratch_store_dwordx2 off, v[8:9], off offset:72 ; 8-byte Folded Spill
	v_fmac_f32_e32 v17, v3, v2
	ds_read_b128 v[0:3], v13 offset:464
	ds_read_b128 v[4:7], v13 offset:976
	;; [unrolled: 1-line block ×3, first 2 shown]
	scratch_load_dwordx2 v[36:37], off, off offset:64 ; 8-byte Folded Reload
	ds_read_b128 v[18:21], v13 offset:1488
	s_waitcnt lgkmcnt(3)
	v_pk_mul_f32 v[0:1], v[16:17], v[0:1] op_sel_hi:[0,1]
	s_waitcnt vmcnt(0) lgkmcnt(1)
	v_pk_fma_f32 v[8:9], v[0:1], v[8:9], v[36:37]
	s_waitcnt lgkmcnt(0)
	v_pk_fma_f32 v[36:37], v[36:37], v[18:19], v[0:1]
	scratch_store_dwordx2 off, v[36:37], off offset:64 ; 8-byte Folded Spill
	scratch_load_dwordx2 v[36:37], off, off offset:144 ; 8-byte Folded Reload
	v_pk_mul_f32 v[4:5], v[4:5], v[8:9]
	v_pk_mul_f32 v[0:1], v[16:17], v[2:3] op_sel_hi:[0,1]
	v_add_f32_e32 v4, v17, v4
	v_add_f32_e32 v4, v4, v5
	s_waitcnt vmcnt(0)
	v_pk_fma_f32 v[2:3], v[0:1], v[10:11], v[36:37]
	s_nop 0
	v_pk_mul_f32 v[2:3], v[6:7], v[2:3]
	v_pk_fma_f32 v[36:37], v[36:37], v[20:21], v[0:1]
	v_add_f32_e32 v2, v4, v2
	v_add_f32_e32 v17, v2, v3
	ds_read_b128 v[0:3], v13 offset:480
	ds_read_b128 v[4:7], v13 offset:992
	;; [unrolled: 1-line block ×4, first 2 shown]
	s_waitcnt lgkmcnt(3)
	v_pk_mul_f32 v[0:1], v[16:17], v[0:1] op_sel_hi:[0,1]
	s_waitcnt lgkmcnt(1)
	v_pk_fma_f32 v[8:9], v[0:1], v[8:9], v[38:39]
	s_waitcnt lgkmcnt(0)
	v_pk_fma_f32 v[38:39], v[38:39], v[18:19], v[0:1]
	v_pk_mul_f32 v[4:5], v[4:5], v[8:9]
	v_pk_mul_f32 v[0:1], v[16:17], v[2:3] op_sel_hi:[0,1]
	v_add_f32_e32 v4, v17, v4
	v_pk_fma_f32 v[2:3], v[0:1], v[10:11], v[40:41]
	v_add_f32_e32 v4, v4, v5
	v_pk_mul_f32 v[2:3], v[6:7], v[2:3]
	v_pk_fma_f32 v[40:41], v[40:41], v[20:21], v[0:1]
	v_add_f32_e32 v2, v4, v2
	v_add_f32_e32 v17, v2, v3
	ds_read_b128 v[0:3], v13 offset:496
	ds_read_b128 v[4:7], v13 offset:1008
	;; [unrolled: 1-line block ×4, first 2 shown]
	s_waitcnt lgkmcnt(3)
	v_pk_mul_f32 v[0:1], v[16:17], v[0:1] op_sel_hi:[0,1]
	s_waitcnt lgkmcnt(1)
	v_pk_fma_f32 v[8:9], v[0:1], v[8:9], v[54:55]
	v_pk_mul_f32 v[2:3], v[16:17], v[2:3] op_sel_hi:[0,1]
	v_pk_mul_f32 v[4:5], v[4:5], v[8:9]
	scratch_load_dwordx2 v[8:9], off, off offset:8 ; 8-byte Folded Reload
	v_add_f32_e32 v4, v17, v4
	s_waitcnt lgkmcnt(0)
	v_pk_fma_f32 v[54:55], v[54:55], v[18:19], v[0:1]
	v_add_f32_e32 v4, v4, v5
	s_waitcnt vmcnt(0)
	v_pk_fma_f32 v[0:1], v[2:3], v[10:11], v[8:9]
	s_nop 0
	v_pk_mul_f32 v[0:1], v[6:7], v[0:1]
	v_pk_fma_f32 v[8:9], v[8:9], v[20:21], v[2:3]
	v_add_f32_e32 v0, v4, v0
	v_add_f32_e32 v0, v0, v1
	scratch_load_dword v1, off, off offset:156 ; 4-byte Folded Reload
	scratch_load_dwordx2 v[2:3], off, off   ; 8-byte Folded Reload
	s_waitcnt vmcnt(1)
	v_cmp_ge_i32_e32 vcc, v12, v1
	s_waitcnt vmcnt(0)
	v_lshl_add_u64 v[2:3], s[8:9], 0, v[2:3]
	global_store_dword v[2:3], v0, off
	scratch_load_dwordx2 v[2:3], off, off   ; 8-byte Folded Reload
	s_or_b64 s[2:3], vcc, s[2:3]
	s_waitcnt vmcnt(0)
	v_lshl_add_u64 v[2:3], v[2:3], 0, s[6:7]
	s_andn2_b64 exec, exec, s[2:3]
	s_cbranch_execnz .LBB1_2
; %bb.3:
	s_or_b64 exec, exec, s[2:3]
	scratch_store_dwordx2 off, v[8:9], off offset:8 ; 8-byte Folded Spill
	scratch_store_dwordx2 off, v[54:55], off offset:104 ; 8-byte Folded Spill
	;; [unrolled: 1-line block ×3, first 2 shown]
	scratch_store_dwordx2 off, v[38:39], off ; 8-byte Folded Spill
	scratch_load_dwordx2 v[8:9], off, off offset:80 ; 8-byte Folded Reload
	s_nop 0
	scratch_load_dwordx2 v[10:11], off, off offset:88 ; 8-byte Folded Reload
	scratch_load_dwordx2 v[6:7], off, off offset:168 ; 8-byte Folded Reload
	;; [unrolled: 1-line block ×4, first 2 shown]
	v_mov_b64_e32 v[20:21], v[36:37]
.LBB1_4:
	s_or_b64 exec, exec, s[0:1]
	s_mul_i32 s0, s22, s21
	s_waitcnt vmcnt(2)
	v_add_u32_e32 v0, s0, v6
	v_ashrrev_i32_e32 v1, 31, v0
	v_lshl_add_u64 v[2:3], v[0:1], 2, s[8:9]
	global_store_dword v[2:3], v10, off
	global_store_dword v[2:3], v11, off offset:512
	global_store_dword v[2:3], v8, off offset:1024
	;; [unrolled: 1-line block ×3, first 2 shown]
	scratch_load_dwordx2 v[4:5], off, off offset:24 ; 8-byte Folded Reload
	s_waitcnt vmcnt(0)
	global_store_dword v[2:3], v4, off offset:2048
	global_store_dword v[2:3], v5, off offset:2560
	scratch_load_dwordx2 v[4:5], off, off offset:16 ; 8-byte Folded Reload
	s_waitcnt vmcnt(0)
	global_store_dword v[2:3], v4, off offset:3072
	global_store_dword v[2:3], v5, off offset:3584
	scratch_load_dwordx2 v[4:5], off, off offset:40 ; 8-byte Folded Reload
	v_add_u32_e32 v2, 0x400, v0
	v_ashrrev_i32_e32 v3, 31, v2
	v_lshl_add_u64 v[2:3], v[2:3], 2, s[8:9]
	s_waitcnt vmcnt(0)
	global_store_dword v[2:3], v4, off
	v_add_u32_e32 v2, 0x480, v0
	v_ashrrev_i32_e32 v3, 31, v2
	v_lshl_add_u64 v[2:3], v[2:3], 2, s[8:9]
	global_store_dword v[2:3], v5, off
	scratch_load_dwordx2 v[4:5], off, off offset:48 ; 8-byte Folded Reload
	v_add_u32_e32 v2, 0x500, v0
	v_ashrrev_i32_e32 v3, 31, v2
	v_lshl_add_u64 v[2:3], v[2:3], 2, s[8:9]
	s_waitcnt vmcnt(0)
	global_store_dword v[2:3], v4, off
	v_add_u32_e32 v2, 0x580, v0
	v_ashrrev_i32_e32 v3, 31, v2
	v_lshl_add_u64 v[2:3], v[2:3], 2, s[8:9]
	global_store_dword v[2:3], v5, off
	;; [unrolled: 10-line block ×3, first 2 shown]
	scratch_load_dwordx2 v[4:5], off, off offset:32 ; 8-byte Folded Reload
	v_add_u32_e32 v2, 0x700, v0
	v_ashrrev_i32_e32 v3, 31, v2
	v_lshl_add_u64 v[2:3], v[2:3], 2, s[8:9]
	global_store_dword v[2:3], v14, off
	v_add_u32_e32 v2, 0x780, v0
	v_ashrrev_i32_e32 v3, 31, v2
	v_lshl_add_u64 v[2:3], v[2:3], 2, s[8:9]
	global_store_dword v[2:3], v15, off
	v_add_u32_e32 v2, 0x800, v0
	v_ashrrev_i32_e32 v3, 31, v2
	v_lshl_add_u64 v[2:3], v[2:3], 2, s[8:9]
	global_store_dword v[2:3], v32, off
	v_add_u32_e32 v2, 0x880, v0
	v_ashrrev_i32_e32 v3, 31, v2
	v_lshl_add_u64 v[2:3], v[2:3], 2, s[8:9]
	global_store_dword v[2:3], v33, off
	v_add_u32_e32 v2, 0x900, v0
	v_ashrrev_i32_e32 v3, 31, v2
	v_lshl_add_u64 v[2:3], v[2:3], 2, s[8:9]
	global_store_dword v[2:3], v122, off
	v_add_u32_e32 v2, 0x980, v0
	v_ashrrev_i32_e32 v3, 31, v2
	v_lshl_add_u64 v[2:3], v[2:3], 2, s[8:9]
	global_store_dword v[2:3], v123, off
	v_add_u32_e32 v2, 0xa00, v0
	v_ashrrev_i32_e32 v3, 31, v2
	v_lshl_add_u64 v[2:3], v[2:3], 2, s[8:9]
	s_waitcnt vmcnt(6)
	global_store_dword v[2:3], v4, off
	v_add_u32_e32 v2, 0xa80, v0
	v_ashrrev_i32_e32 v3, 31, v2
	v_lshl_add_u64 v[2:3], v[2:3], 2, s[8:9]
	global_store_dword v[2:3], v5, off
	v_add_u32_e32 v2, 0xb00, v0
	v_ashrrev_i32_e32 v3, 31, v2
	v_lshl_add_u64 v[2:3], v[2:3], 2, s[8:9]
	;; [unrolled: 4-line block ×73, first 2 shown]
	global_store_dword v[2:3], v117, off
	v_add_u32_e32 v2, 0x2f00, v0
	v_ashrrev_i32_e32 v3, 31, v2
	scratch_load_dwordx2 v[4:5], off, off   ; 8-byte Folded Reload
	v_lshl_add_u64 v[2:3], v[2:3], 2, s[8:9]
	global_store_dword v[2:3], v118, off
	v_add_u32_e32 v2, 0x2f80, v0
	v_ashrrev_i32_e32 v3, 31, v2
	v_lshl_add_u64 v[2:3], v[2:3], 2, s[8:9]
	global_store_dword v[2:3], v119, off
	v_add_u32_e32 v2, 0x3000, v0
	v_ashrrev_i32_e32 v3, 31, v2
	;; [unrolled: 4-line block ×26, first 2 shown]
	v_lshl_add_u64 v[2:3], v[2:3], 2, s[8:9]
	s_waitcnt vmcnt(26)
	global_store_dword v[2:3], v4, off
	v_add_u32_e32 v2, 0x3c80, v0
	v_ashrrev_i32_e32 v3, 31, v2
	v_lshl_add_u64 v[2:3], v[2:3], 2, s[8:9]
	global_store_dword v[2:3], v5, off
	scratch_load_dwordx2 v[4:5], off, off offset:96 ; 8-byte Folded Reload
	v_add_u32_e32 v2, 0x3d00, v0
	v_ashrrev_i32_e32 v3, 31, v2
	v_lshl_add_u64 v[2:3], v[2:3], 2, s[8:9]
	s_waitcnt vmcnt(0)
	global_store_dword v[2:3], v4, off
	v_add_u32_e32 v2, 0x3d80, v0
	v_ashrrev_i32_e32 v3, 31, v2
	v_lshl_add_u64 v[2:3], v[2:3], 2, s[8:9]
	global_store_dword v[2:3], v5, off
	scratch_load_dwordx2 v[4:5], off, off offset:104 ; 8-byte Folded Reload
	v_add_u32_e32 v2, 0x3e00, v0
	v_ashrrev_i32_e32 v3, 31, v2
	v_lshl_add_u64 v[2:3], v[2:3], 2, s[8:9]
	s_waitcnt vmcnt(0)
	global_store_dword v[2:3], v4, off
	v_add_u32_e32 v2, 0x3e80, v0
	v_ashrrev_i32_e32 v3, 31, v2
	v_lshl_add_u64 v[2:3], v[2:3], 2, s[8:9]
	global_store_dword v[2:3], v5, off
	scratch_load_dwordx2 v[4:5], off, off offset:8 ; 8-byte Folded Reload
	v_add_u32_e32 v2, 0x3f00, v0
	v_add_u32_e32 v0, 0x3f80, v0
	v_ashrrev_i32_e32 v3, 31, v2
	v_ashrrev_i32_e32 v1, 31, v0
	v_lshl_add_u64 v[2:3], v[2:3], 2, s[8:9]
	v_lshl_add_u64 v[0:1], v[0:1], 2, s[8:9]
	s_waitcnt vmcnt(0)
	global_store_dword v[2:3], v4, off
	global_store_dword v[0:1], v5, off
	s_endpgm
	.section	.rodata,"a",@progbits
	.p2align	6, 0x0
	.amdhsa_kernel _ZL12rwkv_wkv_f32ILi128EEviiiiPKfS1_S1_S1_S1_S1_Pf
		.amdhsa_group_segment_fixed_size 2048
		.amdhsa_private_segment_fixed_size 180
		.amdhsa_kernarg_size 72
		.amdhsa_user_sgpr_count 2
		.amdhsa_user_sgpr_dispatch_ptr 0
		.amdhsa_user_sgpr_queue_ptr 0
		.amdhsa_user_sgpr_kernarg_segment_ptr 1
		.amdhsa_user_sgpr_dispatch_id 0
		.amdhsa_user_sgpr_kernarg_preload_length 0
		.amdhsa_user_sgpr_kernarg_preload_offset 0
		.amdhsa_user_sgpr_private_segment_size 0
		.amdhsa_uses_dynamic_stack 0
		.amdhsa_enable_private_segment 1
		.amdhsa_system_sgpr_workgroup_id_x 1
		.amdhsa_system_sgpr_workgroup_id_y 0
		.amdhsa_system_sgpr_workgroup_id_z 0
		.amdhsa_system_sgpr_workgroup_info 0
		.amdhsa_system_vgpr_workitem_id 0
		.amdhsa_next_free_vgpr 128
		.amdhsa_next_free_sgpr 24
		.amdhsa_accum_offset 128
		.amdhsa_reserve_vcc 1
		.amdhsa_float_round_mode_32 0
		.amdhsa_float_round_mode_16_64 0
		.amdhsa_float_denorm_mode_32 3
		.amdhsa_float_denorm_mode_16_64 3
		.amdhsa_dx10_clamp 1
		.amdhsa_ieee_mode 1
		.amdhsa_fp16_overflow 0
		.amdhsa_tg_split 0
		.amdhsa_exception_fp_ieee_invalid_op 0
		.amdhsa_exception_fp_denorm_src 0
		.amdhsa_exception_fp_ieee_div_zero 0
		.amdhsa_exception_fp_ieee_overflow 0
		.amdhsa_exception_fp_ieee_underflow 0
		.amdhsa_exception_fp_ieee_inexact 0
		.amdhsa_exception_int_div_zero 0
	.end_amdhsa_kernel
	.section	.text._ZL12rwkv_wkv_f32ILi128EEviiiiPKfS1_S1_S1_S1_S1_Pf,"axG",@progbits,_ZL12rwkv_wkv_f32ILi128EEviiiiPKfS1_S1_S1_S1_S1_Pf,comdat
.Lfunc_end1:
	.size	_ZL12rwkv_wkv_f32ILi128EEviiiiPKfS1_S1_S1_S1_S1_Pf, .Lfunc_end1-_ZL12rwkv_wkv_f32ILi128EEviiiiPKfS1_S1_S1_S1_S1_Pf
                                        ; -- End function
	.section	.AMDGPU.csdata,"",@progbits
; Kernel info:
; codeLenInByte = 12316
; NumSgprs: 30
; NumVgprs: 128
; NumAgprs: 0
; TotalNumVgprs: 128
; ScratchSize: 180
; MemoryBound: 0
; FloatMode: 240
; IeeeMode: 1
; LDSByteSize: 2048 bytes/workgroup (compile time only)
; SGPRBlocks: 3
; VGPRBlocks: 15
; NumSGPRsForWavesPerEU: 30
; NumVGPRsForWavesPerEU: 128
; AccumOffset: 128
; Occupancy: 4
; WaveLimiterHint : 1
; COMPUTE_PGM_RSRC2:SCRATCH_EN: 1
; COMPUTE_PGM_RSRC2:USER_SGPR: 2
; COMPUTE_PGM_RSRC2:TRAP_HANDLER: 0
; COMPUTE_PGM_RSRC2:TGID_X_EN: 1
; COMPUTE_PGM_RSRC2:TGID_Y_EN: 0
; COMPUTE_PGM_RSRC2:TGID_Z_EN: 0
; COMPUTE_PGM_RSRC2:TIDIG_COMP_CNT: 0
; COMPUTE_PGM_RSRC3_GFX90A:ACCUM_OFFSET: 31
; COMPUTE_PGM_RSRC3_GFX90A:TG_SPLIT: 0
	.section	.text._ZL13rwkv_wkv7_f32ILi64EEviiiiPKfS1_S1_S1_S1_S1_S1_Pf,"axG",@progbits,_ZL13rwkv_wkv7_f32ILi64EEviiiiPKfS1_S1_S1_S1_S1_S1_Pf,comdat
	.globl	_ZL13rwkv_wkv7_f32ILi64EEviiiiPKfS1_S1_S1_S1_S1_S1_Pf ; -- Begin function _ZL13rwkv_wkv7_f32ILi64EEviiiiPKfS1_S1_S1_S1_S1_S1_Pf
	.p2align	8
	.type	_ZL13rwkv_wkv7_f32ILi64EEviiiiPKfS1_S1_S1_S1_S1_S1_Pf,@function
_ZL13rwkv_wkv7_f32ILi64EEviiiiPKfS1_S1_S1_S1_S1_S1_Pf: ; @_ZL13rwkv_wkv7_f32ILi64EEviiiiPKfS1_S1_S1_S1_S1_S1_Pf
; %bb.0:
	s_load_dwordx4 s[20:23], s[0:1], 0x0
	s_load_dwordx16 s[4:19], s[0:1], 0x10
	s_abs_i32 s0, s2
	s_waitcnt lgkmcnt(0)
	s_abs_i32 s3, s23
	v_cvt_f32_u32_e32 v1, s3
	v_mov_b32_e32 v2, s16
	v_mov_b32_e32 v3, s17
	s_sub_i32 s16, 0, s3
	v_rcp_iflag_f32_e32 v1, v1
	s_xor_b32 s1, s2, s23
	s_ashr_i32 s1, s1, 31
	v_mul_f32_e32 v1, 0x4f7ffffe, v1
	v_cvt_u32_f32_e32 v1, v1
	s_nop 0
	v_readfirstlane_b32 s17, v1
	s_mul_i32 s16, s16, s17
	s_mul_hi_u32 s16, s17, s16
	s_add_i32 s17, s17, s16
	s_mul_hi_u32 s16, s0, s17
	s_mul_i32 s17, s16, s3
	s_sub_i32 s0, s0, s17
	s_add_i32 s24, s16, 1
	s_sub_i32 s17, s0, s3
	s_cmp_ge_u32 s0, s3
	s_cselect_b32 s16, s24, s16
	s_cselect_b32 s0, s17, s0
	s_add_i32 s17, s16, 1
	s_cmp_ge_u32 s0, s3
	s_cselect_b32 s0, s17, s16
	s_xor_b32 s0, s0, s1
	s_sub_i32 s0, s0, s1
	s_mul_i32 s1, s0, s23
	s_mul_i32 s3, s22, s0
	s_sub_i32 s1, s2, s1
	s_lshl_b32 s2, s3, 6
	s_lshl_b32 s3, s1, 12
	s_add_i32 s3, s3, s2
	v_lshl_add_u32 v74, v0, 6, s3
	v_ashrrev_i32_e32 v75, 31, v74
	v_lshl_add_u64 v[50:51], v[74:75], 2, v[2:3]
	global_load_dwordx4 v[6:9], v[50:51], off offset:48
	global_load_dwordx4 v[14:17], v[50:51], off offset:32
	;; [unrolled: 1-line block ×3, first 2 shown]
	global_load_dwordx4 v[22:25], v[50:51], off
	global_load_dwordx4 v[2:5], v[50:51], off offset:112
	global_load_dwordx4 v[10:13], v[50:51], off offset:96
	global_load_dwordx4 v[58:61], v[50:51], off offset:80
	global_load_dwordx4 v[62:65], v[50:51], off offset:64
	global_load_dwordx4 v[30:33], v[50:51], off offset:176
	global_load_dwordx4 v[38:41], v[50:51], off offset:160
	global_load_dwordx4 v[46:49], v[50:51], off offset:144
	global_load_dwordx4 v[54:57], v[50:51], off offset:128
	global_load_dwordx4 v[26:29], v[50:51], off offset:240
	global_load_dwordx4 v[34:37], v[50:51], off offset:224
	global_load_dwordx4 v[42:45], v[50:51], off offset:208
	s_nop 0
	global_load_dwordx4 v[50:53], v[50:51], off offset:192
	s_abs_i32 s2, s20
	v_cvt_f32_u32_e32 v1, s2
	s_xor_b32 s3, s21, s20
	s_sub_i32 s17, 0, s2
	s_abs_i32 s16, s21
	v_rcp_iflag_f32_e32 v1, v1
	s_ashr_i32 s3, s3, 31
	v_mul_f32_e32 v1, 0x4f7ffffe, v1
	v_cvt_u32_f32_e32 v1, v1
	s_nop 0
	v_readfirstlane_b32 s20, v1
	s_mul_i32 s17, s17, s20
	s_mul_hi_u32 s17, s20, s17
	s_add_i32 s20, s20, s17
	s_mul_hi_u32 s17, s16, s20
	s_mul_i32 s20, s17, s2
	s_sub_i32 s16, s16, s20
	s_add_i32 s20, s17, 1
	s_sub_i32 s23, s16, s2
	s_cmp_ge_u32 s16, s2
	s_cselect_b32 s17, s20, s17
	s_cselect_b32 s16, s23, s16
	s_add_i32 s20, s17, 1
	s_cmp_ge_u32 s16, s2
	s_cselect_b32 s2, s20, s17
	s_xor_b32 s2, s2, s3
	s_sub_i32 s2, s2, s3
	s_mul_i32 s2, s2, s22
	s_mul_i32 s3, s2, s0
	s_add_i32 s0, s0, 1
	v_lshl_add_u32 v1, s1, 6, v0
	s_mul_i32 s2, s2, s0
	v_add_u32_e32 v76, s3, v1
	v_add_u32_e32 v75, s2, v1
	v_cmp_lt_i32_e32 vcc, v76, v75
	s_and_saveexec_b64 s[0:1], vcc
	s_cbranch_execz .LBB2_4
; %bb.1:
	v_lshlrev_b32_e32 v84, 2, v0
	v_ashrrev_i32_e32 v77, 31, v76
	s_ashr_i32 s23, s22, 31
	v_add_u32_e32 v85, 0x300, v84
	v_add_u32_e32 v86, 0x400, v84
	;; [unrolled: 1-line block ×4, first 2 shown]
	v_lshlrev_b64 v[78:79], 2, v[76:77]
	s_lshl_b64 s[16:17], s[22:23], 2
	s_mov_b64 s[2:3], 0
	v_mov_b32_e32 v77, 0
.LBB2_2:                                ; =>This Inner Loop Header: Depth=1
	v_lshl_add_u64 v[0:1], s[4:5], 0, v[78:79]
	v_lshl_add_u64 v[66:67], s[6:7], 0, v[78:79]
	;; [unrolled: 1-line block ×3, first 2 shown]
	s_barrier
	v_lshl_add_u64 v[70:71], s[12:13], 0, v[78:79]
	v_lshl_add_u64 v[72:73], s[14:15], 0, v[78:79]
	global_load_dword v0, v[0:1], off
	s_nop 0
	global_load_dword v1, v[66:67], off
	s_nop 0
	global_load_dword v66, v[68:69], off
	global_load_dword v67, v[70:71], off
	s_nop 0
	global_load_dword v68, v[72:73], off
	v_add_u32_e32 v76, s22, v76
	v_cmp_ge_i32_e32 vcc, v76, v75
	s_or_b64 s[2:3], vcc, s[2:3]
	s_waitcnt vmcnt(4)
	ds_write_b32 v85, v0
	s_waitcnt vmcnt(3)
	ds_write_b32 v86, v1
	;; [unrolled: 2-line block ×5, first 2 shown]
	s_waitcnt lgkmcnt(0)
	s_barrier
	ds_read_b128 v[70:73], v77
	ds_read_b128 v[66:69], v77 offset:16
	ds_read_b128 v[80:83], v77 offset:1024
	ds_read_b128 v[90:93], v77 offset:1040
	ds_read_b128 v[94:97], v77 offset:80
	s_waitcnt lgkmcnt(4)
	v_fma_f32 v70, v70, v22, 0
	v_fmac_f32_e32 v70, v71, v23
	v_fmac_f32_e32 v70, v72, v24
	;; [unrolled: 1-line block ×3, first 2 shown]
	s_waitcnt lgkmcnt(2)
	v_pk_mul_f32 v[22:23], v[22:23], v[80:81]
	v_pk_mul_f32 v[24:25], v[24:25], v[82:83]
	ds_read_b128 v[80:83], v77 offset:32
	v_fmac_f32_e32 v70, v66, v18
	v_fmac_f32_e32 v70, v67, v19
	;; [unrolled: 1-line block ×4, first 2 shown]
	ds_read_b128 v[66:69], v77 offset:48
	s_waitcnt lgkmcnt(1)
	v_fmac_f32_e32 v70, v80, v14
	v_fmac_f32_e32 v70, v81, v15
	;; [unrolled: 1-line block ×4, first 2 shown]
	ds_read_b128 v[80:83], v77 offset:1072
	v_pk_mul_f32 v[18:19], v[18:19], v[90:91]
	v_pk_mul_f32 v[20:21], v[20:21], v[92:93]
	ds_read_b128 v[90:93], v77 offset:1056
	s_waitcnt lgkmcnt(2)
	v_fmac_f32_e32 v70, v66, v6
	v_fmac_f32_e32 v70, v67, v7
	;; [unrolled: 1-line block ×4, first 2 shown]
	s_waitcnt lgkmcnt(1)
	v_pk_mul_f32 v[66:67], v[6:7], v[80:81]
	v_pk_mul_f32 v[8:9], v[8:9], v[82:83]
	ds_read_b128 v[80:83], v77 offset:1088
	s_waitcnt lgkmcnt(1)
	v_pk_mul_f32 v[14:15], v[14:15], v[90:91]
	v_pk_mul_f32 v[16:17], v[16:17], v[92:93]
	ds_read_b128 v[90:93], v77 offset:64
	s_waitcnt lgkmcnt(0)
	v_fmac_f32_e32 v70, v90, v62
	v_fmac_f32_e32 v70, v91, v63
	;; [unrolled: 1-line block ×4, first 2 shown]
	v_pk_mul_f32 v[62:63], v[62:63], v[80:81]
	v_pk_mul_f32 v[64:65], v[64:65], v[82:83]
	ds_read_b128 v[80:83], v77 offset:96
	v_fmac_f32_e32 v70, v94, v58
	v_fmac_f32_e32 v70, v95, v59
	ds_read_b128 v[90:93], v77 offset:1104
	v_fmac_f32_e32 v70, v96, v60
	v_fmac_f32_e32 v70, v97, v61
	ds_read_b128 v[94:97], v77 offset:112
	s_waitcnt lgkmcnt(2)
	v_fmac_f32_e32 v70, v80, v10
	v_fmac_f32_e32 v70, v81, v11
	;; [unrolled: 1-line block ×4, first 2 shown]
	ds_read_b128 v[80:83], v77 offset:1136
	s_waitcnt lgkmcnt(2)
	v_pk_mul_f32 v[58:59], v[58:59], v[90:91]
	v_pk_mul_f32 v[60:61], v[60:61], v[92:93]
	ds_read_b128 v[90:93], v77 offset:1120
	s_waitcnt lgkmcnt(2)
	v_fmac_f32_e32 v70, v94, v2
	v_fmac_f32_e32 v70, v95, v3
	s_waitcnt lgkmcnt(1)
	v_pk_mul_f32 v[68:69], v[2:3], v[80:81]
	ds_read_b128 v[0:3], v77 offset:1152
	s_waitcnt lgkmcnt(1)
	v_pk_mul_f32 v[10:11], v[10:11], v[90:91]
	v_pk_mul_f32 v[12:13], v[12:13], v[92:93]
	ds_read_b128 v[90:93], v77 offset:128
	v_fmac_f32_e32 v70, v96, v4
	v_fmac_f32_e32 v70, v97, v5
	ds_read_b128 v[94:97], v77 offset:144
	v_pk_mul_f32 v[72:73], v[4:5], v[82:83]
	s_waitcnt lgkmcnt(1)
	v_fmac_f32_e32 v70, v90, v54
	v_fmac_f32_e32 v70, v91, v55
	;; [unrolled: 1-line block ×4, first 2 shown]
	v_pk_mul_f32 v[54:55], v[54:55], v[0:1]
	v_pk_mul_f32 v[56:57], v[56:57], v[2:3]
	ds_read_b128 v[0:3], v77 offset:160
	ds_read_b128 v[80:83], v77 offset:176
	s_waitcnt lgkmcnt(2)
	v_fmac_f32_e32 v70, v94, v46
	v_fmac_f32_e32 v70, v95, v47
	ds_read_b128 v[4:7], v77 offset:1168
	v_fmac_f32_e32 v70, v96, v48
	v_fmac_f32_e32 v70, v97, v49
	s_waitcnt lgkmcnt(2)
	v_fmac_f32_e32 v70, v0, v38
	v_fmac_f32_e32 v70, v1, v39
	v_fmac_f32_e32 v70, v2, v40
	v_fmac_f32_e32 v70, v3, v41
	ds_read_b128 v[0:3], v77 offset:1200
	s_waitcnt lgkmcnt(1)
	v_pk_mul_f32 v[46:47], v[46:47], v[4:5]
	v_pk_mul_f32 v[48:49], v[48:49], v[6:7]
	ds_read_b128 v[4:7], v77 offset:1184
	v_fmac_f32_e32 v70, v80, v30
	v_fmac_f32_e32 v70, v81, v31
	;; [unrolled: 1-line block ×4, first 2 shown]
	s_waitcnt lgkmcnt(1)
	v_pk_mul_f32 v[30:31], v[30:31], v[0:1]
	v_pk_mul_f32 v[32:33], v[32:33], v[2:3]
	ds_read_b128 v[0:3], v77 offset:1216
	s_waitcnt lgkmcnt(1)
	v_pk_mul_f32 v[38:39], v[38:39], v[4:5]
	v_pk_mul_f32 v[40:41], v[40:41], v[6:7]
	ds_read_b128 v[4:7], v77 offset:192
	ds_read_b128 v[80:83], v77 offset:208
	;; [unrolled: 1-line block ×3, first 2 shown]
	s_waitcnt lgkmcnt(2)
	v_fmac_f32_e32 v70, v4, v50
	v_fmac_f32_e32 v70, v5, v51
	;; [unrolled: 1-line block ×4, first 2 shown]
	s_waitcnt lgkmcnt(1)
	v_fmac_f32_e32 v70, v80, v42
	v_fmac_f32_e32 v70, v81, v43
	;; [unrolled: 1-line block ×3, first 2 shown]
	ds_read_b128 v[4:7], v77 offset:1232
	v_fmac_f32_e32 v70, v83, v45
	ds_read_b128 v[80:83], v77 offset:1248
	v_pk_mul_f32 v[50:51], v[50:51], v[0:1]
	v_pk_mul_f32 v[52:53], v[52:53], v[2:3]
	ds_read_b128 v[0:3], v77 offset:240
	s_waitcnt lgkmcnt(3)
	v_fmac_f32_e32 v70, v90, v34
	v_fmac_f32_e32 v70, v91, v35
	s_waitcnt lgkmcnt(1)
	v_pk_mul_f32 v[34:35], v[34:35], v[80:81]
	v_lshl_add_u64 v[80:81], s[10:11], 0, v[78:79]
	global_load_dword v80, v[80:81], off
	v_fmac_f32_e32 v70, v92, v36
	v_fmac_f32_e32 v70, v93, v37
	s_waitcnt lgkmcnt(0)
	v_fmac_f32_e32 v70, v0, v26
	v_fmac_f32_e32 v70, v1, v27
	;; [unrolled: 1-line block ×3, first 2 shown]
	v_pk_mul_f32 v[42:43], v[42:43], v[4:5]
	v_pk_mul_f32 v[44:45], v[44:45], v[6:7]
	ds_read_b128 v[4:7], v77 offset:1264
	v_fmac_f32_e32 v70, v3, v29
	ds_read_b128 v[0:3], v77 offset:512
	v_pk_mul_f32 v[36:37], v[36:37], v[82:83]
	v_lshl_add_u64 v[82:83], s[18:19], 0, v[78:79]
	s_waitcnt lgkmcnt(1)
	v_pk_mul_f32 v[26:27], v[26:27], v[4:5]
	v_pk_mul_f32 v[28:29], v[28:29], v[6:7]
	ds_read_b128 v[4:7], v77 offset:528
	v_lshl_add_u64 v[78:79], v[78:79], 0, s[16:17]
	s_waitcnt vmcnt(0) lgkmcnt(1)
	v_pk_fma_f32 v[22:23], v[80:81], v[0:1], v[22:23] op_sel_hi:[0,1,1]
	v_pk_fma_f32 v[24:25], v[80:81], v[2:3], v[24:25] op_sel_hi:[0,1,1]
	ds_read_b128 v[0:3], v77 offset:544
	s_waitcnt lgkmcnt(1)
	v_pk_fma_f32 v[18:19], v[80:81], v[4:5], v[18:19] op_sel_hi:[0,1,1]
	v_pk_fma_f32 v[20:21], v[80:81], v[6:7], v[20:21] op_sel_hi:[0,1,1]
	ds_read_b128 v[4:7], v77 offset:560
	s_waitcnt lgkmcnt(1)
	;; [unrolled: 4-line block ×7, first 2 shown]
	v_pk_fma_f32 v[68:69], v[80:81], v[4:5], v[68:69] op_sel_hi:[0,1,1]
	v_pk_fma_f32 v[72:73], v[80:81], v[6:7], v[72:73] op_sel_hi:[0,1,1]
	ds_read_b128 v[4:7], v77 offset:656
	ds_read_b128 v[10:13], v77 offset:336
	s_waitcnt lgkmcnt(2)
	v_pk_fma_f32 v[54:55], v[80:81], v[0:1], v[54:55] op_sel_hi:[0,1,1]
	v_pk_fma_f32 v[56:57], v[80:81], v[2:3], v[56:57] op_sel_hi:[0,1,1]
	ds_read_b128 v[0:3], v77 offset:672
	s_waitcnt lgkmcnt(2)
	v_pk_fma_f32 v[46:47], v[80:81], v[4:5], v[46:47] op_sel_hi:[0,1,1]
	v_pk_fma_f32 v[48:49], v[80:81], v[6:7], v[48:49] op_sel_hi:[0,1,1]
	ds_read_b128 v[4:7], v77 offset:688
	s_waitcnt lgkmcnt(2)
	v_pk_fma_f32 v[60:61], v[70:71], v[12:13], v[60:61] op_sel_hi:[0,1,1]
	s_waitcnt lgkmcnt(1)
	v_pk_fma_f32 v[38:39], v[80:81], v[0:1], v[38:39] op_sel_hi:[0,1,1]
	v_pk_fma_f32 v[40:41], v[80:81], v[2:3], v[40:41] op_sel_hi:[0,1,1]
	ds_read_b128 v[0:3], v77 offset:704
	s_waitcnt lgkmcnt(1)
	v_pk_fma_f32 v[96:97], v[80:81], v[4:5], v[30:31] op_sel_hi:[0,1,1]
	v_pk_fma_f32 v[98:99], v[80:81], v[6:7], v[32:33] op_sel_hi:[0,1,1]
	ds_read_b128 v[4:7], v77 offset:720
	ds_read_b128 v[30:33], v77 offset:384
	s_waitcnt lgkmcnt(2)
	v_pk_fma_f32 v[50:51], v[80:81], v[0:1], v[50:51] op_sel_hi:[0,1,1]
	v_pk_fma_f32 v[52:53], v[80:81], v[2:3], v[52:53] op_sel_hi:[0,1,1]
	ds_read_b128 v[0:3], v77 offset:736
	s_waitcnt lgkmcnt(2)
	v_pk_fma_f32 v[42:43], v[80:81], v[4:5], v[42:43] op_sel_hi:[0,1,1]
	v_pk_fma_f32 v[44:45], v[80:81], v[6:7], v[44:45] op_sel_hi:[0,1,1]
	ds_read_b128 v[4:7], v77 offset:752
	v_pk_fma_f32 v[58:59], v[70:71], v[10:11], v[58:59] op_sel_hi:[0,1,1]
	s_waitcnt lgkmcnt(1)
	v_pk_fma_f32 v[100:101], v[80:81], v[0:1], v[34:35] op_sel_hi:[0,1,1]
	v_pk_fma_f32 v[102:103], v[80:81], v[2:3], v[36:37] op_sel_hi:[0,1,1]
	ds_read_b128 v[0:3], v77 offset:256
	s_waitcnt lgkmcnt(1)
	v_pk_fma_f32 v[104:105], v[80:81], v[4:5], v[26:27] op_sel_hi:[0,1,1]
	v_pk_fma_f32 v[80:81], v[80:81], v[6:7], v[28:29] op_sel_hi:[0,1,1]
	ds_read_b128 v[4:7], v77 offset:272
	ds_read_b128 v[26:29], v77 offset:368
	s_waitcnt lgkmcnt(2)
	v_pk_fma_f32 v[22:23], v[70:71], v[0:1], v[22:23] op_sel_hi:[0,1,1]
	v_pk_fma_f32 v[24:25], v[70:71], v[2:3], v[24:25] op_sel_hi:[0,1,1]
	ds_read_b128 v[0:3], v77 offset:288
	s_waitcnt lgkmcnt(2)
	v_pk_fma_f32 v[20:21], v[70:71], v[6:7], v[20:21] op_sel_hi:[0,1,1]
	ds_read_b128 v[6:9], v77 offset:304
	v_pk_fma_f32 v[18:19], v[70:71], v[4:5], v[18:19] op_sel_hi:[0,1,1]
	s_waitcnt lgkmcnt(2)
	v_pk_fma_f32 v[4:5], v[70:71], v[28:29], v[72:73] op_sel_hi:[0,1,1]
	s_waitcnt lgkmcnt(1)
	v_pk_fma_f32 v[14:15], v[70:71], v[0:1], v[14:15] op_sel_hi:[0,1,1]
	v_pk_fma_f32 v[16:17], v[70:71], v[2:3], v[16:17] op_sel_hi:[0,1,1]
	ds_read_b128 v[0:3], v77 offset:320
	ds_read_b128 v[34:37], v77 offset:448
	s_waitcnt lgkmcnt(2)
	v_pk_fma_f32 v[6:7], v[70:71], v[6:7], v[66:67] op_sel_hi:[0,1,1]
	v_pk_fma_f32 v[8:9], v[70:71], v[8:9], v[90:91] op_sel_hi:[0,1,1]
	s_waitcnt lgkmcnt(1)
	v_pk_fma_f32 v[62:63], v[70:71], v[0:1], v[62:63] op_sel_hi:[0,1,1]
	v_pk_fma_f32 v[64:65], v[70:71], v[2:3], v[64:65] op_sel_hi:[0,1,1]
	ds_read_b128 v[0:3], v77 offset:352
	s_waitcnt lgkmcnt(0)
	v_pk_fma_f32 v[12:13], v[70:71], v[2:3], v[94:95] op_sel_hi:[0,1,1]
	v_pk_fma_f32 v[2:3], v[70:71], v[26:27], v[68:69] op_sel_hi:[0,1,1]
	ds_read_b128 v[26:29], v77 offset:400
	v_pk_fma_f32 v[54:55], v[70:71], v[30:31], v[54:55] op_sel_hi:[0,1,1]
	v_pk_fma_f32 v[56:57], v[70:71], v[32:33], v[56:57] op_sel_hi:[0,1,1]
	ds_read_b128 v[30:33], v77 offset:416
	ds_read_b128 v[66:69], v77 offset:768
	s_waitcnt lgkmcnt(2)
	v_pk_fma_f32 v[46:47], v[70:71], v[26:27], v[46:47] op_sel_hi:[0,1,1]
	v_pk_fma_f32 v[48:49], v[70:71], v[28:29], v[48:49] op_sel_hi:[0,1,1]
	ds_read_b128 v[26:29], v77 offset:432
	s_waitcnt lgkmcnt(2)
	v_pk_fma_f32 v[38:39], v[70:71], v[30:31], v[38:39] op_sel_hi:[0,1,1]
	v_pk_fma_f32 v[40:41], v[70:71], v[32:33], v[40:41] op_sel_hi:[0,1,1]
	;; [unrolled: 1-line block ×3, first 2 shown]
	s_waitcnt lgkmcnt(1)
	v_fma_f32 v0, v22, v66, 0
	s_waitcnt lgkmcnt(0)
	v_pk_fma_f32 v[30:31], v[70:71], v[26:27], v[96:97] op_sel_hi:[0,1,1]
	v_pk_fma_f32 v[32:33], v[70:71], v[28:29], v[98:99] op_sel_hi:[0,1,1]
	ds_read_b128 v[26:29], v77 offset:464
	v_pk_fma_f32 v[50:51], v[70:71], v[34:35], v[50:51] op_sel_hi:[0,1,1]
	v_pk_fma_f32 v[52:53], v[70:71], v[36:37], v[52:53] op_sel_hi:[0,1,1]
	ds_read_b128 v[34:37], v77 offset:480
	v_fmac_f32_e32 v0, v23, v67
	s_waitcnt lgkmcnt(1)
	v_pk_fma_f32 v[42:43], v[70:71], v[26:27], v[42:43] op_sel_hi:[0,1,1]
	v_pk_fma_f32 v[44:45], v[70:71], v[28:29], v[44:45] op_sel_hi:[0,1,1]
	ds_read_b128 v[26:29], v77 offset:496
	s_waitcnt lgkmcnt(1)
	v_pk_fma_f32 v[34:35], v[70:71], v[34:35], v[100:101] op_sel_hi:[0,1,1]
	v_pk_fma_f32 v[36:37], v[70:71], v[36:37], v[102:103] op_sel_hi:[0,1,1]
	v_fmac_f32_e32 v0, v24, v68
	v_fmac_f32_e32 v0, v25, v69
	s_waitcnt lgkmcnt(0)
	v_pk_fma_f32 v[26:27], v[70:71], v[26:27], v[104:105] op_sel_hi:[0,1,1]
	v_pk_fma_f32 v[28:29], v[70:71], v[28:29], v[80:81] op_sel_hi:[0,1,1]
	ds_read_b128 v[70:73], v77 offset:784
	ds_read_b128 v[90:93], v77 offset:800
	;; [unrolled: 1-line block ×3, first 2 shown]
	s_waitcnt lgkmcnt(2)
	v_fmac_f32_e32 v0, v18, v70
	v_fmac_f32_e32 v0, v19, v71
	;; [unrolled: 1-line block ×4, first 2 shown]
	ds_read_b128 v[70:73], v77 offset:832
	s_waitcnt lgkmcnt(2)
	v_fmac_f32_e32 v0, v14, v90
	v_fmac_f32_e32 v0, v15, v91
	v_fmac_f32_e32 v0, v16, v92
	v_fmac_f32_e32 v0, v17, v93
	s_waitcnt lgkmcnt(1)
	v_fmac_f32_e32 v0, v6, v66
	v_fmac_f32_e32 v0, v7, v67
	v_fmac_f32_e32 v0, v8, v68
	ds_read_b128 v[90:93], v77 offset:848
	v_fmac_f32_e32 v0, v9, v69
	ds_read_b128 v[66:69], v77 offset:864
	s_waitcnt lgkmcnt(2)
	v_fmac_f32_e32 v0, v62, v70
	v_fmac_f32_e32 v0, v63, v71
	v_fmac_f32_e32 v0, v64, v72
	v_fmac_f32_e32 v0, v65, v73
	s_waitcnt lgkmcnt(1)
	v_fmac_f32_e32 v0, v58, v90
	v_fmac_f32_e32 v0, v59, v91
	v_fmac_f32_e32 v0, v60, v92
	ds_read_b128 v[70:73], v77 offset:880
	v_fmac_f32_e32 v0, v61, v93
	;; [unrolled: 12-line block ×6, first 2 shown]
	s_waitcnt lgkmcnt(1)
	v_fmac_f32_e32 v0, v34, v90
	v_fmac_f32_e32 v0, v35, v91
	;; [unrolled: 1-line block ×4, first 2 shown]
	s_waitcnt lgkmcnt(0)
	v_fmac_f32_e32 v0, v26, v66
	v_fmac_f32_e32 v0, v27, v67
	;; [unrolled: 1-line block ×4, first 2 shown]
	global_store_dword v[82:83], v0, off
	s_andn2_b64 exec, exec, s[2:3]
	s_cbranch_execnz .LBB2_2
; %bb.3:
	s_or_b64 exec, exec, s[2:3]
.LBB2_4:
	s_or_b64 exec, exec, s[0:1]
	s_mul_i32 s0, s22, s21
	v_add_u32_e32 v0, s0, v74
	v_ashrrev_i32_e32 v1, 31, v0
	v_lshl_add_u64 v[0:1], v[0:1], 2, s[18:19]
	s_waitcnt vmcnt(12)
	global_store_dwordx4 v[0:1], v[22:25], off
	global_store_dwordx4 v[0:1], v[18:21], off offset:16
	global_store_dwordx4 v[0:1], v[14:17], off offset:32
	global_store_dwordx4 v[0:1], v[6:9], off offset:48
	s_waitcnt vmcnt(12)
	global_store_dwordx4 v[0:1], v[62:65], off offset:64
	global_store_dwordx4 v[0:1], v[58:61], off offset:80
	global_store_dwordx4 v[0:1], v[10:13], off offset:96
	global_store_dwordx4 v[0:1], v[2:5], off offset:112
	s_waitcnt vmcnt(12)
	global_store_dwordx4 v[0:1], v[54:57], off offset:128
	;; [unrolled: 5-line block ×3, first 2 shown]
	global_store_dwordx4 v[0:1], v[42:45], off offset:208
	global_store_dwordx4 v[0:1], v[34:37], off offset:224
	;; [unrolled: 1-line block ×3, first 2 shown]
	s_endpgm
	.section	.rodata,"a",@progbits
	.p2align	6, 0x0
	.amdhsa_kernel _ZL13rwkv_wkv7_f32ILi64EEviiiiPKfS1_S1_S1_S1_S1_S1_Pf
		.amdhsa_group_segment_fixed_size 1280
		.amdhsa_private_segment_fixed_size 0
		.amdhsa_kernarg_size 80
		.amdhsa_user_sgpr_count 2
		.amdhsa_user_sgpr_dispatch_ptr 0
		.amdhsa_user_sgpr_queue_ptr 0
		.amdhsa_user_sgpr_kernarg_segment_ptr 1
		.amdhsa_user_sgpr_dispatch_id 0
		.amdhsa_user_sgpr_kernarg_preload_length 0
		.amdhsa_user_sgpr_kernarg_preload_offset 0
		.amdhsa_user_sgpr_private_segment_size 0
		.amdhsa_uses_dynamic_stack 0
		.amdhsa_enable_private_segment 0
		.amdhsa_system_sgpr_workgroup_id_x 1
		.amdhsa_system_sgpr_workgroup_id_y 0
		.amdhsa_system_sgpr_workgroup_id_z 0
		.amdhsa_system_sgpr_workgroup_info 0
		.amdhsa_system_vgpr_workitem_id 0
		.amdhsa_next_free_vgpr 106
		.amdhsa_next_free_sgpr 25
		.amdhsa_accum_offset 108
		.amdhsa_reserve_vcc 1
		.amdhsa_float_round_mode_32 0
		.amdhsa_float_round_mode_16_64 0
		.amdhsa_float_denorm_mode_32 3
		.amdhsa_float_denorm_mode_16_64 3
		.amdhsa_dx10_clamp 1
		.amdhsa_ieee_mode 1
		.amdhsa_fp16_overflow 0
		.amdhsa_tg_split 0
		.amdhsa_exception_fp_ieee_invalid_op 0
		.amdhsa_exception_fp_denorm_src 0
		.amdhsa_exception_fp_ieee_div_zero 0
		.amdhsa_exception_fp_ieee_overflow 0
		.amdhsa_exception_fp_ieee_underflow 0
		.amdhsa_exception_fp_ieee_inexact 0
		.amdhsa_exception_int_div_zero 0
	.end_amdhsa_kernel
	.section	.text._ZL13rwkv_wkv7_f32ILi64EEviiiiPKfS1_S1_S1_S1_S1_S1_Pf,"axG",@progbits,_ZL13rwkv_wkv7_f32ILi64EEviiiiPKfS1_S1_S1_S1_S1_S1_Pf,comdat
.Lfunc_end2:
	.size	_ZL13rwkv_wkv7_f32ILi64EEviiiiPKfS1_S1_S1_S1_S1_S1_Pf, .Lfunc_end2-_ZL13rwkv_wkv7_f32ILi64EEviiiiPKfS1_S1_S1_S1_S1_S1_Pf
                                        ; -- End function
	.section	.AMDGPU.csdata,"",@progbits
; Kernel info:
; codeLenInByte = 3144
; NumSgprs: 31
; NumVgprs: 106
; NumAgprs: 0
; TotalNumVgprs: 106
; ScratchSize: 0
; MemoryBound: 0
; FloatMode: 240
; IeeeMode: 1
; LDSByteSize: 1280 bytes/workgroup (compile time only)
; SGPRBlocks: 3
; VGPRBlocks: 13
; NumSGPRsForWavesPerEU: 31
; NumVGPRsForWavesPerEU: 106
; AccumOffset: 108
; Occupancy: 4
; WaveLimiterHint : 0
; COMPUTE_PGM_RSRC2:SCRATCH_EN: 0
; COMPUTE_PGM_RSRC2:USER_SGPR: 2
; COMPUTE_PGM_RSRC2:TRAP_HANDLER: 0
; COMPUTE_PGM_RSRC2:TGID_X_EN: 1
; COMPUTE_PGM_RSRC2:TGID_Y_EN: 0
; COMPUTE_PGM_RSRC2:TGID_Z_EN: 0
; COMPUTE_PGM_RSRC2:TIDIG_COMP_CNT: 0
; COMPUTE_PGM_RSRC3_GFX90A:ACCUM_OFFSET: 26
; COMPUTE_PGM_RSRC3_GFX90A:TG_SPLIT: 0
	.section	.text._ZL13rwkv_wkv7_f32ILi128EEviiiiPKfS1_S1_S1_S1_S1_S1_Pf,"axG",@progbits,_ZL13rwkv_wkv7_f32ILi128EEviiiiPKfS1_S1_S1_S1_S1_S1_Pf,comdat
	.globl	_ZL13rwkv_wkv7_f32ILi128EEviiiiPKfS1_S1_S1_S1_S1_S1_Pf ; -- Begin function _ZL13rwkv_wkv7_f32ILi128EEviiiiPKfS1_S1_S1_S1_S1_S1_Pf
	.p2align	8
	.type	_ZL13rwkv_wkv7_f32ILi128EEviiiiPKfS1_S1_S1_S1_S1_S1_Pf,@function
_ZL13rwkv_wkv7_f32ILi128EEviiiiPKfS1_S1_S1_S1_S1_S1_Pf: ; @_ZL13rwkv_wkv7_f32ILi128EEviiiiPKfS1_S1_S1_S1_S1_S1_Pf
; %bb.0:
	s_load_dwordx4 s[20:23], s[0:1], 0x0
	s_load_dwordx16 s[4:19], s[0:1], 0x10
	s_abs_i32 s1, s2
	s_waitcnt lgkmcnt(0)
	s_abs_i32 s3, s23
	v_cvt_f32_u32_e32 v1, s3
	v_mov_b32_e32 v2, s16
	v_mov_b32_e32 v3, s17
	s_sub_i32 s16, 0, s3
	v_rcp_iflag_f32_e32 v1, v1
	s_xor_b32 s0, s2, s23
	s_ashr_i32 s0, s0, 31
	v_mul_f32_e32 v1, 0x4f7ffffe, v1
	v_cvt_u32_f32_e32 v1, v1
	s_nop 0
	v_readfirstlane_b32 s17, v1
	s_mul_i32 s16, s16, s17
	s_mul_hi_u32 s16, s17, s16
	s_add_i32 s17, s17, s16
	s_mul_hi_u32 s16, s1, s17
	s_mul_i32 s17, s16, s3
	s_sub_i32 s1, s1, s17
	s_add_i32 s17, s16, 1
	s_sub_i32 s24, s1, s3
	s_cmp_ge_u32 s1, s3
	s_cselect_b32 s16, s17, s16
	s_cselect_b32 s1, s24, s1
	s_add_i32 s17, s16, 1
	s_cmp_ge_u32 s1, s3
	s_cselect_b32 s1, s17, s16
	s_xor_b32 s1, s1, s0
	s_sub_i32 s0, s1, s0
	s_mul_i32 s1, s0, s23
	s_sub_i32 s1, s2, s1
	s_mul_i32 s2, s22, s0
	s_lshl_b32 s2, s2, 7
	s_lshl_b32 s3, s1, 14
	s_add_i32 s3, s3, s2
	v_lshl_add_u32 v8, v0, 7, s3
	v_ashrrev_i32_e32 v9, 31, v8
	v_lshl_add_u64 v[6:7], v[8:9], 2, v[2:3]
	global_load_dwordx4 v[106:109], v[6:7], off offset:48
	global_load_dwordx4 v[118:121], v[6:7], off offset:32
	;; [unrolled: 1-line block ×3, first 2 shown]
	global_load_dwordx4 v[2:5], v[6:7], off
	global_load_dwordx4 v[102:105], v[6:7], off offset:112
	global_load_dwordx4 v[114:117], v[6:7], off offset:96
	;; [unrolled: 1-line block ×4, first 2 shown]
	s_abs_i32 s16, s20
	v_cvt_f32_u32_e32 v1, s16
	s_xor_b32 s2, s21, s20
	s_sub_i32 s17, 0, s16
	s_abs_i32 s3, s21
	v_rcp_iflag_f32_e32 v1, v1
	s_ashr_i32 s2, s2, 31
	v_mul_f32_e32 v1, 0x4f7ffffe, v1
	v_cvt_u32_f32_e32 v1, v1
	s_waitcnt vmcnt(0)
	scratch_store_dwordx4 off, v[14:17], off offset:16 ; 16-byte Folded Spill
	global_load_dwordx4 v[90:93], v[6:7], off offset:176
	global_load_dwordx4 v[94:97], v[6:7], off offset:160
	;; [unrolled: 1-line block ×21, first 2 shown]
	v_readfirstlane_b32 s20, v1
	s_mul_i32 s17, s17, s20
	s_mul_hi_u32 s17, s20, s17
	s_add_i32 s20, s20, s17
	s_mul_hi_u32 s17, s3, s20
	s_mul_i32 s20, s17, s16
	s_sub_i32 s3, s3, s20
	s_add_i32 s20, s17, 1
	s_sub_i32 s23, s3, s16
	s_cmp_ge_u32 s3, s16
	s_cselect_b32 s17, s20, s17
	s_cselect_b32 s3, s23, s3
	s_add_i32 s20, s17, 1
	s_cmp_ge_u32 s3, s16
	s_cselect_b32 s3, s20, s17
	s_xor_b32 s3, s3, s2
	s_sub_i32 s2, s3, s2
	s_mul_i32 s2, s2, s22
	s_mul_i32 s3, s2, s0
	s_add_i32 s0, s0, 1
	v_lshl_add_u32 v1, s1, 7, v0
	s_mul_i32 s2, s2, s0
	v_add_u32_e32 v126, s2, v1
	s_waitcnt vmcnt(0)
	scratch_store_dwordx4 off, v[14:17], off offset:32 ; 16-byte Folded Spill
	global_load_dwordx4 v[14:17], v[6:7], off offset:480
	s_nop 0
	global_load_dwordx4 v[18:21], v[6:7], off offset:464
	global_load_dwordx4 v[22:25], v[6:7], off offset:448
	v_add_u32_e32 v6, s3, v1
	v_cmp_lt_i32_e32 vcc, v6, v126
	s_and_saveexec_b64 s[0:1], vcc
	s_cbranch_execz .LBB3_4
; %bb.1:
	v_lshlrev_b32_e32 v0, 2, v0
	v_add_u32_e32 v7, 0x600, v0
	scratch_store_dword off, v7, off offset:376 ; 4-byte Folded Spill
	v_add_u32_e32 v7, 0x800, v0
	scratch_store_dword off, v7, off offset:380 ; 4-byte Folded Spill
	v_add_u32_e32 v7, 0x400, v0
	scratch_store_dwordx2 off, v[8:9], off offset:392 ; 8-byte Folded Spill
	scratch_store_dword off, v7, off offset:384 ; 4-byte Folded Spill
	scratch_store_dword off, v0, off offset:372 ; 4-byte Folded Spill
	v_add_u32_e32 v0, 0x200, v0
	scratch_store_dword off, v0, off offset:388 ; 4-byte Folded Spill
	s_waitcnt vmcnt(8)
	scratch_store_dwordx4 off, v[14:17], off offset:48 ; 16-byte Folded Spill
	s_waitcnt vmcnt(8)
	scratch_store_dwordx4 off, v[18:21], off offset:80 ; 16-byte Folded Spill
	;; [unrolled: 2-line block ×3, first 2 shown]
	scratch_store_dwordx4 off, v[30:33], off offset:112 ; 16-byte Folded Spill
	scratch_load_dwordx4 v[14:17], off, off offset:16 ; 16-byte Folded Reload
	v_ashrrev_i32_e32 v7, 31, v6
	s_ashr_i32 s23, s22, 31
	v_mov_b64_e32 v[22:23], v[46:47]
	v_mov_b64_e32 v[18:19], v[50:51]
	v_lshlrev_b64 v[8:9], 2, v[6:7]
	s_lshl_b64 s[16:17], s[22:23], 2
	s_mov_b64 s[2:3], 0
	v_mov_b32_e32 v127, 0
	v_mov_b64_e32 v[24:25], v[48:49]
	v_mov_b64_e32 v[20:21], v[52:53]
	scratch_store_dwordx4 off, v[54:57], off offset:64 ; 16-byte Folded Spill
	scratch_store_dword off, v126, off offset:368 ; 4-byte Folded Spill
.LBB3_2:                                ; =>This Inner Loop Header: Depth=1
	v_lshl_add_u64 v[0:1], s[4:5], 0, v[8:9]
	scratch_store_dwordx2 off, v[8:9], off offset:16 ; 8-byte Folded Spill
	scratch_store_dwordx2 off, v[6:7], off offset:128 ; 8-byte Folded Spill
	s_barrier
	global_load_dword v6, v[0:1], off
	v_lshl_add_u64 v[0:1], s[6:7], 0, v[8:9]
	global_load_dword v7, v[0:1], off
	v_lshl_add_u64 v[0:1], s[8:9], 0, v[8:9]
	global_load_dword v8, v[0:1], off
	s_nop 0
	scratch_load_dwordx2 v[0:1], off, off offset:16 ; 8-byte Folded Reload
	s_waitcnt vmcnt(0)
	v_lshl_add_u64 v[0:1], s[12:13], 0, v[0:1]
	global_load_dword v9, v[0:1], off
	s_nop 0
	scratch_load_dwordx2 v[0:1], off, off offset:16 ; 8-byte Folded Reload
	s_waitcnt vmcnt(0)
	v_lshl_add_u64 v[0:1], s[14:15], 0, v[0:1]
	global_load_dword v0, v[0:1], off
	s_nop 0
	scratch_load_dword v1, off, off offset:376 ; 4-byte Folded Reload
	s_waitcnt vmcnt(0)
	ds_write_b32 v1, v6
	scratch_load_dword v1, off, off offset:380 ; 4-byte Folded Reload
	s_waitcnt vmcnt(0)
	ds_write_b32 v1, v7
	;; [unrolled: 3-line block ×5, first 2 shown]
	s_waitcnt lgkmcnt(0)
	s_barrier
	ds_read_b128 v[6:9], v127
	ds_read_b128 v[50:53], v127 offset:1216
	s_waitcnt lgkmcnt(1)
	v_fma_f32 v126, v6, v2, 0
	v_fmac_f32_e32 v126, v7, v3
	v_fmac_f32_e32 v126, v8, v4
	;; [unrolled: 1-line block ×3, first 2 shown]
	ds_read_b128 v[6:9], v127 offset:2048
	s_waitcnt lgkmcnt(0)
	v_pk_mul_f32 v[54:55], v[2:3], v[6:7]
	ds_read_b128 v[0:3], v127 offset:16
	v_pk_mul_f32 v[8:9], v[4:5], v[8:9]
	scratch_load_dwordx4 v[4:7], off, off offset:64 ; 16-byte Folded Reload
	s_waitcnt lgkmcnt(0)
	v_fmac_f32_e32 v126, v0, v10
	v_fmac_f32_e32 v126, v1, v11
	v_fmac_f32_e32 v126, v2, v12
	v_fmac_f32_e32 v126, v3, v13
	ds_read_b128 v[0:3], v127 offset:2064
	s_waitcnt lgkmcnt(0)
	v_pk_mul_f32 v[10:11], v[10:11], v[0:1]
	v_pk_mul_f32 v[12:13], v[12:13], v[2:3]
	ds_read_b128 v[0:3], v127 offset:32
	s_waitcnt lgkmcnt(0)
	v_fmac_f32_e32 v126, v0, v118
	v_fmac_f32_e32 v126, v1, v119
	v_fmac_f32_e32 v126, v2, v120
	v_fmac_f32_e32 v126, v3, v121
	ds_read_b128 v[0:3], v127 offset:2080
	s_waitcnt lgkmcnt(0)
	v_pk_mul_f32 v[30:31], v[118:119], v[0:1]
	v_pk_mul_f32 v[32:33], v[120:121], v[2:3]
	ds_read_b128 v[0:3], v127 offset:48
	;; [unrolled: 10-line block ×3, first 2 shown]
	s_waitcnt lgkmcnt(0)
	v_fmac_f32_e32 v126, v0, v14
	v_fmac_f32_e32 v126, v1, v15
	v_fmac_f32_e32 v126, v2, v16
	v_fmac_f32_e32 v126, v3, v17
	ds_read_b128 v[0:3], v127 offset:2112
	s_waitcnt lgkmcnt(0)
	v_pk_mul_f32 v[56:57], v[14:15], v[0:1]
	v_pk_mul_f32 v[0:1], v[16:17], v[2:3]
	scratch_store_dwordx2 off, v[0:1], off  ; 8-byte Folded Spill
	ds_read_b128 v[0:3], v127 offset:80
	ds_read_b128 v[14:17], v127 offset:1072
	s_waitcnt lgkmcnt(1)
	v_fmac_f32_e32 v126, v0, v122
	v_fmac_f32_e32 v126, v1, v123
	v_fmac_f32_e32 v126, v2, v124
	v_fmac_f32_e32 v126, v3, v125
	ds_read_b128 v[0:3], v127 offset:2128
	s_waitcnt lgkmcnt(0)
	v_pk_mul_f32 v[0:1], v[122:123], v[0:1]
	scratch_store_dwordx2 off, v[0:1], off offset:136 ; 8-byte Folded Spill
	v_pk_mul_f32 v[0:1], v[124:125], v[2:3]
	scratch_store_dwordx2 off, v[0:1], off offset:152 ; 8-byte Folded Spill
	ds_read_b128 v[0:3], v127 offset:96
	s_waitcnt lgkmcnt(0)
	v_fmac_f32_e32 v126, v0, v114
	v_fmac_f32_e32 v126, v1, v115
	v_fmac_f32_e32 v126, v2, v116
	v_fmac_f32_e32 v126, v3, v117
	ds_read_b128 v[0:3], v127 offset:2144
	s_waitcnt lgkmcnt(0)
	v_pk_mul_f32 v[0:1], v[114:115], v[0:1]
	scratch_store_dwordx2 off, v[0:1], off offset:168 ; 8-byte Folded Spill
	v_pk_mul_f32 v[0:1], v[116:117], v[2:3]
	scratch_store_dwordx2 off, v[0:1], off offset:176 ; 8-byte Folded Spill
	;; [unrolled: 12-line block ×13, first 2 shown]
	ds_read_b128 v[0:3], v127 offset:288
	s_waitcnt lgkmcnt(0)
	v_fmac_f32_e32 v126, v0, v62
	v_fmac_f32_e32 v126, v1, v63
	;; [unrolled: 1-line block ×4, first 2 shown]
	ds_read_b128 v[0:3], v127 offset:2336
	s_waitcnt lgkmcnt(0)
	v_pk_mul_f32 v[124:125], v[62:63], v[0:1]
	v_pk_mul_f32 v[0:1], v[64:65], v[2:3]
	scratch_store_dwordx2 off, v[0:1], off offset:360 ; 8-byte Folded Spill
	ds_read_b128 v[0:3], v127 offset:304
	ds_read_b128 v[62:65], v127 offset:1264
	s_waitcnt lgkmcnt(1)
	v_fmac_f32_e32 v126, v0, v58
	v_fmac_f32_e32 v126, v1, v59
	;; [unrolled: 1-line block ×4, first 2 shown]
	ds_read_b128 v[0:3], v127 offset:2352
	s_waitcnt lgkmcnt(0)
	v_pk_mul_f32 v[122:123], v[58:59], v[0:1]
	v_pk_mul_f32 v[118:119], v[60:61], v[2:3]
	ds_read_b128 v[0:3], v127 offset:320
	ds_read_b128 v[58:61], v127 offset:1248
	s_waitcnt vmcnt(28) lgkmcnt(1)
	v_fmac_f32_e32 v126, v0, v4
	v_fmac_f32_e32 v126, v1, v5
	;; [unrolled: 1-line block ×4, first 2 shown]
	ds_read_b128 v[0:3], v127 offset:2368
	s_waitcnt lgkmcnt(0)
	v_pk_mul_f32 v[116:117], v[4:5], v[0:1]
	v_pk_mul_f32 v[0:1], v[6:7], v[2:3]
	scratch_load_dwordx4 v[4:7], off, off offset:112 ; 16-byte Folded Reload
	s_nop 0
	scratch_store_dwordx2 off, v[0:1], off offset:64 ; 8-byte Folded Spill
	ds_read_b128 v[0:3], v127 offset:336
	s_waitcnt lgkmcnt(0)
	v_fmac_f32_e32 v126, v0, v18
	v_fmac_f32_e32 v126, v1, v19
	v_fmac_f32_e32 v126, v2, v20
	v_fmac_f32_e32 v126, v3, v21
	ds_read_b128 v[0:3], v127 offset:2384
	s_waitcnt lgkmcnt(0)
	v_pk_mul_f32 v[114:115], v[18:19], v[0:1]
	v_pk_mul_f32 v[110:111], v[20:21], v[2:3]
	ds_read_b128 v[0:3], v127 offset:352
	ds_read_b128 v[18:21], v127 offset:1088
	s_waitcnt lgkmcnt(1)
	v_fmac_f32_e32 v126, v0, v22
	v_fmac_f32_e32 v126, v1, v23
	v_fmac_f32_e32 v126, v2, v24
	v_fmac_f32_e32 v126, v3, v25
	ds_read_b128 v[0:3], v127 offset:2400
	s_waitcnt lgkmcnt(0)
	v_pk_mul_f32 v[108:109], v[22:23], v[0:1]
	v_pk_mul_f32 v[120:121], v[24:25], v[2:3]
	ds_read_b128 v[0:3], v127 offset:368
	;; [unrolled: 11-line block ×5, first 2 shown]
	ds_read_b128 v[34:37], v127 offset:1152
	s_waitcnt vmcnt(1) lgkmcnt(1)
	v_fmac_f32_e32 v126, v0, v4
	v_fmac_f32_e32 v126, v1, v5
	v_fmac_f32_e32 v126, v2, v6
	v_fmac_f32_e32 v126, v3, v7
	ds_read_b128 v[0:3], v127 offset:2464
	s_waitcnt lgkmcnt(0)
	v_pk_mul_f32 v[92:93], v[4:5], v[0:1]
	v_pk_mul_f32 v[104:105], v[6:7], v[2:3]
	scratch_load_dwordx4 v[4:7], off, off offset:96 ; 16-byte Folded Reload
	ds_read_b128 v[0:3], v127 offset:432
	s_waitcnt lgkmcnt(0)
	v_fmac_f32_e32 v126, v0, v26
	v_fmac_f32_e32 v126, v1, v27
	;; [unrolled: 1-line block ×4, first 2 shown]
	ds_read_b128 v[0:3], v127 offset:2480
	s_waitcnt lgkmcnt(0)
	v_pk_mul_f32 v[90:91], v[26:27], v[0:1]
	v_pk_mul_f32 v[86:87], v[28:29], v[2:3]
	ds_read_b128 v[0:3], v127 offset:448
	ds_read_b128 v[26:29], v127 offset:1120
	s_waitcnt vmcnt(0) lgkmcnt(1)
	v_fmac_f32_e32 v126, v0, v4
	v_fmac_f32_e32 v126, v1, v5
	v_fmac_f32_e32 v126, v2, v6
	v_fmac_f32_e32 v126, v3, v7
	ds_read_b128 v[0:3], v127 offset:2496
	s_waitcnt lgkmcnt(0)
	v_pk_mul_f32 v[84:85], v[4:5], v[0:1]
	v_pk_mul_f32 v[96:97], v[6:7], v[2:3]
	scratch_load_dwordx4 v[4:7], off, off offset:80 ; 16-byte Folded Reload
	ds_read_b128 v[0:3], v127 offset:464
	s_waitcnt vmcnt(0) lgkmcnt(0)
	v_fmac_f32_e32 v126, v0, v4
	v_fmac_f32_e32 v126, v1, v5
	v_fmac_f32_e32 v126, v2, v6
	v_fmac_f32_e32 v126, v3, v7
	ds_read_b128 v[0:3], v127 offset:2512
	s_waitcnt lgkmcnt(0)
	v_pk_mul_f32 v[82:83], v[4:5], v[0:1]
	v_pk_mul_f32 v[78:79], v[6:7], v[2:3]
	scratch_load_dwordx4 v[4:7], off, off offset:48 ; 16-byte Folded Reload
	;; [unrolled: 11-line block ×3, first 2 shown]
	ds_read_b128 v[0:3], v127 offset:496
	s_waitcnt vmcnt(0) lgkmcnt(0)
	v_fmac_f32_e32 v126, v0, v4
	v_fmac_f32_e32 v126, v1, v5
	;; [unrolled: 1-line block ×4, first 2 shown]
	ds_read_b128 v[0:3], v127 offset:2544
	s_waitcnt lgkmcnt(0)
	v_pk_mul_f32 v[74:75], v[4:5], v[0:1]
	scratch_load_dwordx2 v[0:1], off, off offset:16 ; 8-byte Folded Reload
	v_pk_mul_f32 v[68:69], v[6:7], v[2:3]
	ds_read_b128 v[2:5], v127 offset:1024
	s_waitcnt vmcnt(0)
	v_lshl_add_u64 v[0:1], s[10:11], 0, v[0:1]
	global_load_dword v0, v[0:1], off
	s_waitcnt vmcnt(0)
	v_pk_fma_f32 v[14:15], v[0:1], v[14:15], v[46:47] op_sel_hi:[0,1,1]
	v_pk_fma_f32 v[16:17], v[0:1], v[16:17], v[48:49] op_sel_hi:[0,1,1]
	ds_read_b128 v[46:49], v127 offset:1200
	s_waitcnt lgkmcnt(1)
	v_pk_fma_f32 v[66:67], v[0:1], v[2:3], v[54:55] op_sel_hi:[0,1,1]
	scratch_load_dwordx2 v[2:3], off, off   ; 8-byte Folded Reload
	v_pk_fma_f32 v[72:73], v[0:1], v[4:5], v[8:9] op_sel_hi:[0,1,1]
	ds_read_b128 v[6:9], v127 offset:1040
	v_pk_fma_f32 v[18:19], v[0:1], v[18:19], v[56:57] op_sel_hi:[0,1,1]
	ds_read_b128 v[54:57], v127 offset:1232
	s_waitcnt lgkmcnt(1)
	v_pk_fma_f32 v[6:7], v[0:1], v[6:7], v[10:11] op_sel_hi:[0,1,1]
	v_pk_fma_f32 v[8:9], v[0:1], v[8:9], v[12:13] op_sel_hi:[0,1,1]
	ds_read_b128 v[10:13], v127 offset:1056
	s_waitcnt lgkmcnt(0)
	v_pk_fma_f32 v[70:71], v[0:1], v[10:11], v[30:31] op_sel_hi:[0,1,1]
	scratch_load_dwordx2 v[10:11], off, off offset:328 ; 8-byte Folded Reload
	v_pk_fma_f32 v[80:81], v[0:1], v[12:13], v[32:33] op_sel_hi:[0,1,1]
	ds_read_b128 v[30:33], v127 offset:1136
	s_waitcnt vmcnt(1)
	v_pk_fma_f32 v[20:21], v[0:1], v[20:21], v[2:3] op_sel_hi:[0,1,1]
	scratch_load_dwordx2 v[2:3], off, off offset:136 ; 8-byte Folded Reload
	s_waitcnt vmcnt(0)
	v_pk_fma_f32 v[22:23], v[0:1], v[22:23], v[2:3] op_sel_hi:[0,1,1]
	scratch_load_dwordx2 v[2:3], off, off offset:152 ; 8-byte Folded Reload
	s_waitcnt vmcnt(0)
	v_pk_fma_f32 v[24:25], v[0:1], v[24:25], v[2:3] op_sel_hi:[0,1,1]
	scratch_load_dwordx2 v[2:3], off, off offset:168 ; 8-byte Folded Reload
	s_waitcnt vmcnt(0)
	v_pk_fma_f32 v[26:27], v[0:1], v[26:27], v[2:3] op_sel_hi:[0,1,1]
	scratch_load_dwordx2 v[2:3], off, off offset:176 ; 8-byte Folded Reload
	s_waitcnt vmcnt(0)
	v_pk_fma_f32 v[28:29], v[0:1], v[28:29], v[2:3] op_sel_hi:[0,1,1]
	scratch_load_dwordx2 v[2:3], off, off offset:184 ; 8-byte Folded Reload
	s_waitcnt vmcnt(0) lgkmcnt(0)
	v_pk_fma_f32 v[30:31], v[0:1], v[30:31], v[2:3] op_sel_hi:[0,1,1]
	scratch_load_dwordx2 v[2:3], off, off offset:192 ; 8-byte Folded Reload
	s_waitcnt vmcnt(0)
	v_pk_fma_f32 v[32:33], v[0:1], v[32:33], v[2:3] op_sel_hi:[0,1,1]
	scratch_load_dwordx2 v[2:3], off, off offset:200 ; 8-byte Folded Reload
	s_waitcnt vmcnt(0)
	;; [unrolled: 3-line block ×17, first 2 shown]
	v_pk_fma_f32 v[64:65], v[0:1], v[64:65], v[2:3] op_sel_hi:[0,1,1]
	ds_read_b128 v[2:5], v127 offset:1280
	s_waitcnt lgkmcnt(0)
	v_pk_fma_f32 v[2:3], v[0:1], v[2:3], v[10:11] op_sel_hi:[0,1,1]
	scratch_store_dwordx2 off, v[2:3], off offset:32 ; 8-byte Folded Spill
	scratch_load_dwordx2 v[2:3], off, off offset:336 ; 8-byte Folded Reload
	s_nop 0
	scratch_load_dwordx2 v[10:11], off, off offset:344 ; 8-byte Folded Reload
	s_waitcnt vmcnt(1)
	v_pk_fma_f32 v[2:3], v[0:1], v[4:5], v[2:3] op_sel_hi:[0,1,1]
	scratch_store_dwordx2 off, v[2:3], off offset:48 ; 8-byte Folded Spill
	ds_read_b128 v[2:5], v127 offset:1296
	s_waitcnt vmcnt(1) lgkmcnt(0)
	v_pk_fma_f32 v[2:3], v[0:1], v[2:3], v[10:11] op_sel_hi:[0,1,1]
	scratch_store_dwordx2 off, v[2:3], off offset:80 ; 8-byte Folded Spill
	scratch_load_dwordx2 v[2:3], off, off offset:352 ; 8-byte Folded Reload
	s_waitcnt vmcnt(0)
	v_pk_fma_f32 v[2:3], v[0:1], v[4:5], v[2:3] op_sel_hi:[0,1,1]
	scratch_store_dwordx2 off, v[2:3], off offset:96 ; 8-byte Folded Spill
	ds_read_b128 v[2:5], v127 offset:1312
	s_waitcnt lgkmcnt(0)
	v_pk_fma_f32 v[2:3], v[0:1], v[2:3], v[124:125] op_sel_hi:[0,1,1]
	scratch_store_dwordx2 off, v[2:3], off offset:112 ; 8-byte Folded Spill
	scratch_load_dwordx2 v[2:3], off, off offset:360 ; 8-byte Folded Reload
	s_waitcnt vmcnt(0)
	v_pk_fma_f32 v[2:3], v[0:1], v[4:5], v[2:3] op_sel_hi:[0,1,1]
	scratch_store_dwordx2 off, v[2:3], off offset:136 ; 8-byte Folded Spill
	ds_read_b128 v[2:5], v127 offset:1328
	s_waitcnt lgkmcnt(0)
	v_pk_fma_f32 v[2:3], v[0:1], v[2:3], v[122:123] op_sel_hi:[0,1,1]
	scratch_store_dwordx2 off, v[2:3], off offset:152 ; 8-byte Folded Spill
	v_pk_fma_f32 v[2:3], v[0:1], v[4:5], v[118:119] op_sel_hi:[0,1,1]
	scratch_store_dwordx2 off, v[2:3], off offset:168 ; 8-byte Folded Spill
	ds_read_b128 v[2:5], v127 offset:1344
	s_waitcnt lgkmcnt(0)
	v_pk_fma_f32 v[2:3], v[0:1], v[2:3], v[116:117] op_sel_hi:[0,1,1]
	scratch_store_dwordx2 off, v[2:3], off offset:176 ; 8-byte Folded Spill
	scratch_load_dwordx2 v[2:3], off, off offset:64 ; 8-byte Folded Reload
	s_waitcnt vmcnt(0)
	v_pk_fma_f32 v[2:3], v[0:1], v[4:5], v[2:3] op_sel_hi:[0,1,1]
	scratch_store_dwordx2 off, v[2:3], off offset:64 ; 8-byte Folded Spill
	ds_read_b128 v[2:5], v127 offset:1360
	s_waitcnt lgkmcnt(0)
	v_pk_fma_f32 v[2:3], v[0:1], v[2:3], v[114:115] op_sel_hi:[0,1,1]
	scratch_store_dwordx2 off, v[2:3], off offset:184 ; 8-byte Folded Spill
	v_pk_fma_f32 v[2:3], v[0:1], v[4:5], v[110:111] op_sel_hi:[0,1,1]
	scratch_store_dwordx2 off, v[2:3], off offset:192 ; 8-byte Folded Spill
	ds_read_b128 v[2:5], v127 offset:1376
	s_waitcnt lgkmcnt(0)
	v_pk_fma_f32 v[2:3], v[0:1], v[2:3], v[108:109] op_sel_hi:[0,1,1]
	scratch_store_dwordx2 off, v[2:3], off offset:200 ; 8-byte Folded Spill
	;; [unrolled: 6-line block ×11, first 2 shown]
	v_pk_fma_f32 v[0:1], v[0:1], v[4:5], v[68:69] op_sel_hi:[0,1,1]
	ds_read_b128 v[2:5], v127 offset:512
	s_waitcnt lgkmcnt(0)
	v_pk_fma_f32 v[2:3], v[126:127], v[2:3], v[66:67] op_sel_hi:[0,1,1]
	scratch_store_dwordx4 off, v[2:5], off  ; 16-byte Folded Spill
	scratch_load_dwordx4 v[10:13], off, off ; 16-byte Folded Reload
	ds_read_b128 v[66:69], v127 offset:528
	scratch_load_dwordx2 v[2:3], off, off offset:32 ; 8-byte Folded Reload
	s_waitcnt vmcnt(1)
	v_pk_fma_f32 v[12:13], v[126:127], v[4:5], v[72:73] op_sel_hi:[0,1,1]
	scratch_load_dwordx2 v[4:5], off, off offset:192 ; 8-byte Folded Reload
	s_nop 0
	scratch_store_dwordx4 off, v[10:13], off ; 16-byte Folded Spill
	s_waitcnt lgkmcnt(0)
	s_nop 0
	v_pk_fma_f32 v[10:11], v[126:127], v[66:67], v[6:7] op_sel_hi:[0,1,1]
	v_pk_fma_f32 v[12:13], v[126:127], v[68:69], v[8:9] op_sel_hi:[0,1,1]
	ds_read_b128 v[6:9], v127 offset:544
	s_waitcnt lgkmcnt(0)
	v_pk_fma_f32 v[118:119], v[126:127], v[6:7], v[70:71] op_sel_hi:[0,1,1]
	v_pk_fma_f32 v[120:121], v[126:127], v[8:9], v[80:81] op_sel_hi:[0,1,1]
	ds_read_b128 v[6:9], v127 offset:560
	s_waitcnt lgkmcnt(0)
	v_pk_fma_f32 v[106:107], v[126:127], v[6:7], v[14:15] op_sel_hi:[0,1,1]
	v_pk_fma_f32 v[108:109], v[126:127], v[8:9], v[16:17] op_sel_hi:[0,1,1]
	ds_read_b128 v[6:9], v127 offset:576
	s_waitcnt lgkmcnt(0)
	v_pk_fma_f32 v[14:15], v[126:127], v[6:7], v[18:19] op_sel_hi:[0,1,1]
	v_pk_fma_f32 v[16:17], v[126:127], v[8:9], v[20:21] op_sel_hi:[0,1,1]
	ds_read_b128 v[6:9], v127 offset:592
	s_waitcnt lgkmcnt(0)
	v_pk_fma_f32 v[122:123], v[126:127], v[6:7], v[22:23] op_sel_hi:[0,1,1]
	v_pk_fma_f32 v[124:125], v[126:127], v[8:9], v[24:25] op_sel_hi:[0,1,1]
	ds_read_b128 v[6:9], v127 offset:608
	s_waitcnt lgkmcnt(0)
	v_pk_fma_f32 v[114:115], v[126:127], v[6:7], v[26:27] op_sel_hi:[0,1,1]
	v_pk_fma_f32 v[116:117], v[126:127], v[8:9], v[28:29] op_sel_hi:[0,1,1]
	ds_read_b128 v[6:9], v127 offset:624
	s_waitcnt lgkmcnt(0)
	v_pk_fma_f32 v[102:103], v[126:127], v[6:7], v[30:31] op_sel_hi:[0,1,1]
	v_pk_fma_f32 v[104:105], v[126:127], v[8:9], v[32:33] op_sel_hi:[0,1,1]
	ds_read_b128 v[6:9], v127 offset:640
	s_waitcnt lgkmcnt(0)
	v_pk_fma_f32 v[110:111], v[126:127], v[6:7], v[34:35] op_sel_hi:[0,1,1]
	v_pk_fma_f32 v[112:113], v[126:127], v[8:9], v[36:37] op_sel_hi:[0,1,1]
	ds_read_b128 v[6:9], v127 offset:656
	s_waitcnt lgkmcnt(0)
	v_pk_fma_f32 v[98:99], v[126:127], v[6:7], v[38:39] op_sel_hi:[0,1,1]
	v_pk_fma_f32 v[100:101], v[126:127], v[8:9], v[40:41] op_sel_hi:[0,1,1]
	ds_read_b128 v[6:9], v127 offset:672
	s_waitcnt lgkmcnt(0)
	v_pk_fma_f32 v[94:95], v[126:127], v[6:7], v[42:43] op_sel_hi:[0,1,1]
	v_pk_fma_f32 v[96:97], v[126:127], v[8:9], v[44:45] op_sel_hi:[0,1,1]
	ds_read_b128 v[6:9], v127 offset:688
	s_waitcnt lgkmcnt(0)
	v_pk_fma_f32 v[90:91], v[126:127], v[6:7], v[46:47] op_sel_hi:[0,1,1]
	v_pk_fma_f32 v[92:93], v[126:127], v[8:9], v[48:49] op_sel_hi:[0,1,1]
	ds_read_b128 v[6:9], v127 offset:704
	s_waitcnt lgkmcnt(0)
	v_pk_fma_f32 v[86:87], v[126:127], v[6:7], v[50:51] op_sel_hi:[0,1,1]
	v_pk_fma_f32 v[88:89], v[126:127], v[8:9], v[52:53] op_sel_hi:[0,1,1]
	ds_read_b128 v[6:9], v127 offset:720
	s_waitcnt lgkmcnt(0)
	v_pk_fma_f32 v[82:83], v[126:127], v[6:7], v[54:55] op_sel_hi:[0,1,1]
	v_pk_fma_f32 v[84:85], v[126:127], v[8:9], v[56:57] op_sel_hi:[0,1,1]
	ds_read_b128 v[6:9], v127 offset:736
	s_waitcnt lgkmcnt(0)
	v_pk_fma_f32 v[78:79], v[126:127], v[6:7], v[58:59] op_sel_hi:[0,1,1]
	v_pk_fma_f32 v[80:81], v[126:127], v[8:9], v[60:61] op_sel_hi:[0,1,1]
	ds_read_b128 v[6:9], v127 offset:752
	s_waitcnt lgkmcnt(0)
	v_pk_fma_f32 v[74:75], v[126:127], v[6:7], v[62:63] op_sel_hi:[0,1,1]
	v_pk_fma_f32 v[76:77], v[126:127], v[8:9], v[64:65] op_sel_hi:[0,1,1]
	ds_read_b128 v[6:9], v127 offset:768
	s_waitcnt vmcnt(2) lgkmcnt(0)
	v_pk_fma_f32 v[70:71], v[126:127], v[6:7], v[2:3] op_sel_hi:[0,1,1]
	scratch_load_dwordx2 v[2:3], off, off offset:48 ; 8-byte Folded Reload
	s_waitcnt vmcnt(0)
	v_pk_fma_f32 v[72:73], v[126:127], v[8:9], v[2:3] op_sel_hi:[0,1,1]
	scratch_load_dwordx2 v[2:3], off, off offset:80 ; 8-byte Folded Reload
	ds_read_b128 v[6:9], v127 offset:784
	s_waitcnt vmcnt(0) lgkmcnt(0)
	v_pk_fma_f32 v[66:67], v[126:127], v[6:7], v[2:3] op_sel_hi:[0,1,1]
	scratch_load_dwordx2 v[2:3], off, off offset:96 ; 8-byte Folded Reload
	s_waitcnt vmcnt(0)
	v_pk_fma_f32 v[68:69], v[126:127], v[8:9], v[2:3] op_sel_hi:[0,1,1]
	scratch_load_dwordx2 v[2:3], off, off offset:112 ; 8-byte Folded Reload
	;; [unrolled: 7-line block ×5, first 2 shown]
	ds_read_b128 v[6:9], v127 offset:848
	scratch_store_dwordx4 off, v[18:21], off offset:64 ; 16-byte Folded Spill
	s_waitcnt lgkmcnt(0)
	v_pk_fma_f32 v[4:5], v[126:127], v[8:9], v[4:5] op_sel_hi:[0,1,1]
	s_waitcnt vmcnt(1)
	v_pk_fma_f32 v[2:3], v[126:127], v[6:7], v[2:3] op_sel_hi:[0,1,1]
	scratch_store_dwordx4 off, v[2:5], off offset:152 ; 16-byte Folded Spill
	scratch_load_dwordx2 v[2:3], off, off offset:200 ; 8-byte Folded Reload
	ds_read_b128 v[6:9], v127 offset:864
	scratch_load_dwordx2 v[4:5], off, off offset:224 ; 8-byte Folded Reload
	s_waitcnt vmcnt(1) lgkmcnt(0)
	v_pk_fma_f32 v[54:55], v[126:127], v[6:7], v[2:3] op_sel_hi:[0,1,1]
	scratch_load_dwordx2 v[2:3], off, off offset:208 ; 8-byte Folded Reload
	s_waitcnt vmcnt(0)
	v_pk_fma_f32 v[56:57], v[126:127], v[8:9], v[2:3] op_sel_hi:[0,1,1]
	scratch_load_dwordx2 v[2:3], off, off offset:216 ; 8-byte Folded Reload
	ds_read_b128 v[6:9], v127 offset:880
	s_waitcnt lgkmcnt(0)
	v_pk_fma_f32 v[4:5], v[126:127], v[8:9], v[4:5] op_sel_hi:[0,1,1]
	s_waitcnt vmcnt(0)
	v_pk_fma_f32 v[2:3], v[126:127], v[6:7], v[2:3] op_sel_hi:[0,1,1]
	scratch_store_dwordx4 off, v[2:5], off offset:136 ; 16-byte Folded Spill
	scratch_load_dwordx2 v[2:3], off, off offset:232 ; 8-byte Folded Reload
	ds_read_b128 v[6:9], v127 offset:896
	s_waitcnt vmcnt(0) lgkmcnt(0)
	v_pk_fma_f32 v[26:27], v[126:127], v[6:7], v[2:3] op_sel_hi:[0,1,1]
	scratch_load_dwordx2 v[2:3], off, off offset:240 ; 8-byte Folded Reload
	s_waitcnt vmcnt(0)
	v_pk_fma_f32 v[28:29], v[126:127], v[8:9], v[2:3] op_sel_hi:[0,1,1]
	scratch_load_dwordx2 v[2:3], off, off offset:248 ; 8-byte Folded Reload
	ds_read_b128 v[6:9], v127 offset:912
	s_waitcnt vmcnt(0) lgkmcnt(0)
	v_pk_fma_f32 v[42:43], v[126:127], v[6:7], v[2:3] op_sel_hi:[0,1,1]
	scratch_load_dwordx2 v[2:3], off, off offset:256 ; 8-byte Folded Reload
	s_waitcnt vmcnt(0)
	v_pk_fma_f32 v[44:45], v[126:127], v[8:9], v[2:3] op_sel_hi:[0,1,1]
	;; [unrolled: 7-line block ×3, first 2 shown]
	scratch_load_dwordx2 v[2:3], off, off offset:280 ; 8-byte Folded Reload
	ds_read_b128 v[6:9], v127 offset:944
	scratch_store_dwordx4 off, v[38:41], off offset:112 ; 16-byte Folded Spill
	s_waitcnt vmcnt(1) lgkmcnt(0)
	v_pk_fma_f32 v[46:47], v[126:127], v[6:7], v[2:3] op_sel_hi:[0,1,1]
	scratch_load_dwordx2 v[2:3], off, off offset:288 ; 8-byte Folded Reload
	s_waitcnt vmcnt(0)
	v_pk_fma_f32 v[48:49], v[126:127], v[8:9], v[2:3] op_sel_hi:[0,1,1]
	scratch_load_dwordx2 v[2:3], off, off offset:296 ; 8-byte Folded Reload
	ds_read_b128 v[6:9], v127 offset:960
	s_waitcnt vmcnt(0) lgkmcnt(0)
	v_pk_fma_f32 v[50:51], v[126:127], v[6:7], v[2:3] op_sel_hi:[0,1,1]
	scratch_load_dwordx2 v[2:3], off, off offset:304 ; 8-byte Folded Reload
	s_waitcnt vmcnt(0)
	v_pk_fma_f32 v[52:53], v[126:127], v[8:9], v[2:3] op_sel_hi:[0,1,1]
	scratch_load_dwordx2 v[2:3], off, off offset:312 ; 8-byte Folded Reload
	ds_read_b128 v[6:9], v127 offset:976
	scratch_store_dwordx4 off, v[50:53], off offset:96 ; 16-byte Folded Spill
	s_waitcnt vmcnt(1) lgkmcnt(0)
	v_pk_fma_f32 v[34:35], v[126:127], v[6:7], v[2:3] op_sel_hi:[0,1,1]
	scratch_load_dwordx2 v[2:3], off, off offset:320 ; 8-byte Folded Reload
	s_waitcnt vmcnt(0)
	v_pk_fma_f32 v[36:37], v[126:127], v[8:9], v[2:3] op_sel_hi:[0,1,1]
	scratch_load_dwordx2 v[2:3], off, off offset:328 ; 8-byte Folded Reload
	ds_read_b128 v[6:9], v127 offset:992
	scratch_store_dwordx4 off, v[34:37], off offset:80 ; 16-byte Folded Spill
	;; [unrolled: 8-line block ×3, first 2 shown]
	s_waitcnt lgkmcnt(0)
	v_pk_fma_f32 v[32:33], v[126:127], v[8:9], v[0:1] op_sel_hi:[0,1,1]
	s_waitcnt vmcnt(1)
	v_pk_fma_f32 v[30:31], v[126:127], v[6:7], v[2:3] op_sel_hi:[0,1,1]
	scratch_load_dword v126, off, off offset:368 ; 4-byte Folded Reload
	scratch_load_dwordx4 v[0:3], off, off   ; 16-byte Folded Reload
	scratch_load_dwordx4 v[2:5], off, off   ; 16-byte Folded Reload
	ds_read_b128 v[6:9], v127 offset:1536
	scratch_store_dwordx4 off, v[30:33], off offset:32 ; 16-byte Folded Spill
	s_waitcnt vmcnt(2) lgkmcnt(0)
	v_fma_f32 v0, v0, v6, 0
	s_waitcnt vmcnt(1)
	v_fmac_f32_e32 v0, v3, v7
	scratch_load_dwordx4 v[2:5], off, off   ; 16-byte Folded Reload
	s_waitcnt vmcnt(0)
	v_fmac_f32_e32 v0, v4, v8
	scratch_load_dwordx4 v[2:5], off, off   ; 16-byte Folded Reload
	s_waitcnt vmcnt(0)
	v_fmac_f32_e32 v0, v5, v9
	ds_read_b128 v[6:9], v127 offset:1552
	scratch_load_dwordx4 v[2:5], off, off offset:136 ; 16-byte Folded Reload
	s_waitcnt lgkmcnt(0)
	v_fmac_f32_e32 v0, v10, v6
	v_fmac_f32_e32 v0, v11, v7
	v_fmac_f32_e32 v0, v12, v8
	v_fmac_f32_e32 v0, v13, v9
	ds_read_b128 v[6:9], v127 offset:1568
	s_waitcnt lgkmcnt(0)
	v_fmac_f32_e32 v0, v118, v6
	v_fmac_f32_e32 v0, v119, v7
	v_fmac_f32_e32 v0, v120, v8
	v_fmac_f32_e32 v0, v121, v9
	ds_read_b128 v[6:9], v127 offset:1584
	;; [unrolled: 6-line block ×19, first 2 shown]
	s_waitcnt lgkmcnt(0)
	v_fmac_f32_e32 v0, v18, v6
	v_fmac_f32_e32 v0, v19, v7
	;; [unrolled: 1-line block ×4, first 2 shown]
	scratch_load_dwordx4 v[18:21], off, off offset:152 ; 16-byte Folded Reload
	ds_read_b128 v[6:9], v127 offset:1872
	s_waitcnt vmcnt(0) lgkmcnt(0)
	v_fmac_f32_e32 v0, v18, v6
	v_fmac_f32_e32 v0, v19, v7
	v_fmac_f32_e32 v0, v20, v8
	v_fmac_f32_e32 v0, v21, v9
	ds_read_b128 v[6:9], v127 offset:1888
	s_waitcnt lgkmcnt(0)
	v_fmac_f32_e32 v0, v54, v6
	v_fmac_f32_e32 v0, v55, v7
	v_fmac_f32_e32 v0, v56, v8
	v_fmac_f32_e32 v0, v57, v9
	ds_read_b128 v[6:9], v127 offset:1904
	s_waitcnt lgkmcnt(0)
	;; [unrolled: 6-line block ×5, first 2 shown]
	v_fmac_f32_e32 v0, v38, v6
	v_fmac_f32_e32 v0, v39, v7
	v_fmac_f32_e32 v0, v40, v8
	v_fmac_f32_e32 v0, v41, v9
	ds_read_b128 v[6:9], v127 offset:1968
	v_mov_b64_e32 v[40:41], v[28:29]
	v_mov_b64_e32 v[38:39], v[26:27]
	;; [unrolled: 1-line block ×4, first 2 shown]
	s_waitcnt lgkmcnt(0)
	v_fmac_f32_e32 v0, v46, v6
	v_fmac_f32_e32 v0, v47, v7
	v_fmac_f32_e32 v0, v48, v8
	v_fmac_f32_e32 v0, v49, v9
	ds_read_b128 v[6:9], v127 offset:1984
	s_waitcnt lgkmcnt(0)
	v_fmac_f32_e32 v0, v50, v6
	v_fmac_f32_e32 v0, v51, v7
	v_fmac_f32_e32 v0, v52, v8
	v_fmac_f32_e32 v0, v53, v9
	ds_read_b128 v[6:9], v127 offset:2000
	;; [unrolled: 6-line block ×3, first 2 shown]
	v_mov_b64_e32 v[34:35], v[42:43]
	v_mov_b64_e32 v[36:37], v[44:45]
	;; [unrolled: 1-line block ×4, first 2 shown]
	s_waitcnt lgkmcnt(0)
	v_fmac_f32_e32 v0, v22, v6
	v_fmac_f32_e32 v0, v23, v7
	v_fmac_f32_e32 v0, v24, v8
	v_fmac_f32_e32 v0, v25, v9
	ds_read_b128 v[6:9], v127 offset:2032
	v_mov_b64_e32 v[22:23], v[54:55]
	v_mov_b64_e32 v[24:25], v[56:57]
	s_waitcnt lgkmcnt(0)
	v_fmac_f32_e32 v0, v30, v6
	v_fmac_f32_e32 v0, v31, v7
	;; [unrolled: 1-line block ×4, first 2 shown]
	scratch_load_dwordx4 v[2:5], off, off   ; 16-byte Folded Reload
	scratch_load_dwordx2 v[8:9], off, off offset:16 ; 8-byte Folded Reload
	s_waitcnt vmcnt(0)
	v_lshl_add_u64 v[6:7], s[18:19], 0, v[8:9]
	global_store_dword v[6:7], v0, off
	scratch_load_dwordx2 v[6:7], off, off offset:128 ; 8-byte Folded Reload
	v_lshl_add_u64 v[8:9], v[8:9], 0, s[16:17]
	s_waitcnt vmcnt(0)
	v_add_u32_e32 v6, s22, v6
	v_cmp_ge_i32_e32 vcc, v6, v126
	s_or_b64 s[2:3], vcc, s[2:3]
	s_andn2_b64 exec, exec, s[2:3]
	s_cbranch_execnz .LBB3_2
; %bb.3:
	s_or_b64 exec, exec, s[2:3]
	scratch_store_dwordx4 off, v[14:17], off offset:16 ; 16-byte Folded Spill
	v_mov_b64_e32 v[52:53], v[20:21]
	v_mov_b64_e32 v[48:49], v[24:25]
	scratch_load_dwordx4 v[54:57], off, off offset:64 ; 16-byte Folded Reload
	v_mov_b64_e32 v[50:51], v[18:19]
	v_mov_b64_e32 v[46:47], v[22:23]
	scratch_load_dwordx4 v[30:33], off, off offset:112 ; 16-byte Folded Reload
	scratch_load_dwordx4 v[18:21], off, off offset:80 ; 16-byte Folded Reload
	;; [unrolled: 1-line block ×4, first 2 shown]
	scratch_load_dwordx2 v[8:9], off, off offset:392 ; 8-byte Folded Reload
.LBB3_4:
	s_or_b64 exec, exec, s[0:1]
	s_mul_i32 s0, s22, s21
	s_waitcnt vmcnt(0)
	v_add_u32_e32 v0, s0, v8
	v_ashrrev_i32_e32 v1, 31, v0
	v_lshl_add_u64 v[0:1], v[0:1], 2, s[18:19]
	global_store_dwordx4 v[0:1], v[2:5], off
	global_store_dwordx4 v[0:1], v[10:13], off offset:16
	global_store_dwordx4 v[0:1], v[118:121], off offset:32
	;; [unrolled: 1-line block ×3, first 2 shown]
	scratch_load_dwordx4 v[2:5], off, off offset:16 ; 16-byte Folded Reload
	s_waitcnt vmcnt(0)
	global_store_dwordx4 v[0:1], v[2:5], off offset:64
	global_store_dwordx4 v[0:1], v[122:125], off offset:80
	;; [unrolled: 1-line block ×27, first 2 shown]
	scratch_load_dwordx4 v[2:5], off, off offset:32 ; 16-byte Folded Reload
	s_waitcnt vmcnt(0)
	global_store_dwordx4 v[0:1], v[2:5], off offset:496
	s_endpgm
	.section	.rodata,"a",@progbits
	.p2align	6, 0x0
	.amdhsa_kernel _ZL13rwkv_wkv7_f32ILi128EEviiiiPKfS1_S1_S1_S1_S1_S1_Pf
		.amdhsa_group_segment_fixed_size 2560
		.amdhsa_private_segment_fixed_size 404
		.amdhsa_kernarg_size 80
		.amdhsa_user_sgpr_count 2
		.amdhsa_user_sgpr_dispatch_ptr 0
		.amdhsa_user_sgpr_queue_ptr 0
		.amdhsa_user_sgpr_kernarg_segment_ptr 1
		.amdhsa_user_sgpr_dispatch_id 0
		.amdhsa_user_sgpr_kernarg_preload_length 0
		.amdhsa_user_sgpr_kernarg_preload_offset 0
		.amdhsa_user_sgpr_private_segment_size 0
		.amdhsa_uses_dynamic_stack 0
		.amdhsa_enable_private_segment 1
		.amdhsa_system_sgpr_workgroup_id_x 1
		.amdhsa_system_sgpr_workgroup_id_y 0
		.amdhsa_system_sgpr_workgroup_id_z 0
		.amdhsa_system_sgpr_workgroup_info 0
		.amdhsa_system_vgpr_workitem_id 0
		.amdhsa_next_free_vgpr 128
		.amdhsa_next_free_sgpr 25
		.amdhsa_accum_offset 128
		.amdhsa_reserve_vcc 1
		.amdhsa_float_round_mode_32 0
		.amdhsa_float_round_mode_16_64 0
		.amdhsa_float_denorm_mode_32 3
		.amdhsa_float_denorm_mode_16_64 3
		.amdhsa_dx10_clamp 1
		.amdhsa_ieee_mode 1
		.amdhsa_fp16_overflow 0
		.amdhsa_tg_split 0
		.amdhsa_exception_fp_ieee_invalid_op 0
		.amdhsa_exception_fp_denorm_src 0
		.amdhsa_exception_fp_ieee_div_zero 0
		.amdhsa_exception_fp_ieee_overflow 0
		.amdhsa_exception_fp_ieee_underflow 0
		.amdhsa_exception_fp_ieee_inexact 0
		.amdhsa_exception_int_div_zero 0
	.end_amdhsa_kernel
	.section	.text._ZL13rwkv_wkv7_f32ILi128EEviiiiPKfS1_S1_S1_S1_S1_S1_Pf,"axG",@progbits,_ZL13rwkv_wkv7_f32ILi128EEviiiiPKfS1_S1_S1_S1_S1_S1_Pf,comdat
.Lfunc_end3:
	.size	_ZL13rwkv_wkv7_f32ILi128EEviiiiPKfS1_S1_S1_S1_S1_S1_Pf, .Lfunc_end3-_ZL13rwkv_wkv7_f32ILi128EEviiiiPKfS1_S1_S1_S1_S1_S1_Pf
                                        ; -- End function
	.section	.AMDGPU.csdata,"",@progbits
; Kernel info:
; codeLenInByte = 7388
; NumSgprs: 31
; NumVgprs: 128
; NumAgprs: 0
; TotalNumVgprs: 128
; ScratchSize: 404
; MemoryBound: 1
; FloatMode: 240
; IeeeMode: 1
; LDSByteSize: 2560 bytes/workgroup (compile time only)
; SGPRBlocks: 3
; VGPRBlocks: 15
; NumSGPRsForWavesPerEU: 31
; NumVGPRsForWavesPerEU: 128
; AccumOffset: 128
; Occupancy: 4
; WaveLimiterHint : 0
; COMPUTE_PGM_RSRC2:SCRATCH_EN: 1
; COMPUTE_PGM_RSRC2:USER_SGPR: 2
; COMPUTE_PGM_RSRC2:TRAP_HANDLER: 0
; COMPUTE_PGM_RSRC2:TGID_X_EN: 1
; COMPUTE_PGM_RSRC2:TGID_Y_EN: 0
; COMPUTE_PGM_RSRC2:TGID_Z_EN: 0
; COMPUTE_PGM_RSRC2:TIDIG_COMP_CNT: 0
; COMPUTE_PGM_RSRC3_GFX90A:ACCUM_OFFSET: 31
; COMPUTE_PGM_RSRC3_GFX90A:TG_SPLIT: 0
	.text
	.p2alignl 6, 3212836864
	.fill 256, 4, 3212836864
	.type	__hip_cuid_7b0921007e9f442a,@object ; @__hip_cuid_7b0921007e9f442a
	.section	.bss,"aw",@nobits
	.globl	__hip_cuid_7b0921007e9f442a
__hip_cuid_7b0921007e9f442a:
	.byte	0                               ; 0x0
	.size	__hip_cuid_7b0921007e9f442a, 1

	.ident	"AMD clang version 19.0.0git (https://github.com/RadeonOpenCompute/llvm-project roc-6.4.0 25133 c7fe45cf4b819c5991fe208aaa96edf142730f1d)"
	.section	".note.GNU-stack","",@progbits
	.addrsig
	.addrsig_sym __hip_cuid_7b0921007e9f442a
	.amdgpu_metadata
---
amdhsa.kernels:
  - .agpr_count:     0
    .args:
      - .offset:         0
        .size:           4
        .value_kind:     by_value
      - .offset:         4
        .size:           4
        .value_kind:     by_value
      - .offset:         8
        .size:           4
        .value_kind:     by_value
      - .offset:         12
        .size:           4
        .value_kind:     by_value
      - .address_space:  global
        .offset:         16
        .size:           8
        .value_kind:     global_buffer
      - .address_space:  global
        .offset:         24
        .size:           8
        .value_kind:     global_buffer
      - .address_space:  global
        .offset:         32
        .size:           8
        .value_kind:     global_buffer
      - .address_space:  global
        .offset:         40
        .size:           8
        .value_kind:     global_buffer
      - .address_space:  global
        .offset:         48
        .size:           8
        .value_kind:     global_buffer
      - .address_space:  global
        .offset:         56
        .size:           8
        .value_kind:     global_buffer
      - .address_space:  global
        .offset:         64
        .size:           8
        .value_kind:     global_buffer
    .group_segment_fixed_size: 1024
    .kernarg_segment_align: 8
    .kernarg_segment_size: 72
    .language:       OpenCL C
    .language_version:
      - 2
      - 0
    .max_flat_workgroup_size: 1024
    .name:           _ZL12rwkv_wkv_f32ILi64EEviiiiPKfS1_S1_S1_S1_S1_Pf
    .private_segment_fixed_size: 0
    .sgpr_count:     30
    .sgpr_spill_count: 0
    .symbol:         _ZL12rwkv_wkv_f32ILi64EEviiiiPKfS1_S1_S1_S1_S1_Pf.kd
    .uniform_work_group_size: 1
    .uses_dynamic_stack: false
    .vgpr_count:     102
    .vgpr_spill_count: 0
    .wavefront_size: 64
  - .agpr_count:     0
    .args:
      - .offset:         0
        .size:           4
        .value_kind:     by_value
      - .offset:         4
        .size:           4
        .value_kind:     by_value
      - .offset:         8
        .size:           4
        .value_kind:     by_value
      - .offset:         12
        .size:           4
        .value_kind:     by_value
      - .address_space:  global
        .offset:         16
        .size:           8
        .value_kind:     global_buffer
      - .address_space:  global
        .offset:         24
        .size:           8
        .value_kind:     global_buffer
      - .address_space:  global
        .offset:         32
        .size:           8
        .value_kind:     global_buffer
      - .address_space:  global
        .offset:         40
        .size:           8
        .value_kind:     global_buffer
      - .address_space:  global
        .offset:         48
        .size:           8
        .value_kind:     global_buffer
      - .address_space:  global
        .offset:         56
        .size:           8
        .value_kind:     global_buffer
      - .address_space:  global
        .offset:         64
        .size:           8
        .value_kind:     global_buffer
    .group_segment_fixed_size: 2048
    .kernarg_segment_align: 8
    .kernarg_segment_size: 72
    .language:       OpenCL C
    .language_version:
      - 2
      - 0
    .max_flat_workgroup_size: 1024
    .name:           _ZL12rwkv_wkv_f32ILi128EEviiiiPKfS1_S1_S1_S1_S1_Pf
    .private_segment_fixed_size: 180
    .sgpr_count:     30
    .sgpr_spill_count: 0
    .symbol:         _ZL12rwkv_wkv_f32ILi128EEviiiiPKfS1_S1_S1_S1_S1_Pf.kd
    .uniform_work_group_size: 1
    .uses_dynamic_stack: false
    .vgpr_count:     128
    .vgpr_spill_count: 80
    .wavefront_size: 64
  - .agpr_count:     0
    .args:
      - .offset:         0
        .size:           4
        .value_kind:     by_value
      - .offset:         4
        .size:           4
        .value_kind:     by_value
      - .offset:         8
        .size:           4
        .value_kind:     by_value
      - .offset:         12
        .size:           4
        .value_kind:     by_value
      - .address_space:  global
        .offset:         16
        .size:           8
        .value_kind:     global_buffer
      - .address_space:  global
        .offset:         24
        .size:           8
        .value_kind:     global_buffer
      - .address_space:  global
        .offset:         32
        .size:           8
        .value_kind:     global_buffer
      - .address_space:  global
        .offset:         40
        .size:           8
        .value_kind:     global_buffer
      - .address_space:  global
        .offset:         48
        .size:           8
        .value_kind:     global_buffer
      - .address_space:  global
        .offset:         56
        .size:           8
        .value_kind:     global_buffer
      - .address_space:  global
        .offset:         64
        .size:           8
        .value_kind:     global_buffer
      - .address_space:  global
        .offset:         72
        .size:           8
        .value_kind:     global_buffer
    .group_segment_fixed_size: 1280
    .kernarg_segment_align: 8
    .kernarg_segment_size: 80
    .language:       OpenCL C
    .language_version:
      - 2
      - 0
    .max_flat_workgroup_size: 1024
    .name:           _ZL13rwkv_wkv7_f32ILi64EEviiiiPKfS1_S1_S1_S1_S1_S1_Pf
    .private_segment_fixed_size: 0
    .sgpr_count:     31
    .sgpr_spill_count: 0
    .symbol:         _ZL13rwkv_wkv7_f32ILi64EEviiiiPKfS1_S1_S1_S1_S1_S1_Pf.kd
    .uniform_work_group_size: 1
    .uses_dynamic_stack: false
    .vgpr_count:     106
    .vgpr_spill_count: 0
    .wavefront_size: 64
  - .agpr_count:     0
    .args:
      - .offset:         0
        .size:           4
        .value_kind:     by_value
      - .offset:         4
        .size:           4
        .value_kind:     by_value
      - .offset:         8
        .size:           4
        .value_kind:     by_value
      - .offset:         12
        .size:           4
        .value_kind:     by_value
      - .address_space:  global
        .offset:         16
        .size:           8
        .value_kind:     global_buffer
      - .address_space:  global
        .offset:         24
        .size:           8
        .value_kind:     global_buffer
      - .address_space:  global
        .offset:         32
        .size:           8
        .value_kind:     global_buffer
      - .address_space:  global
        .offset:         40
        .size:           8
        .value_kind:     global_buffer
      - .address_space:  global
        .offset:         48
        .size:           8
        .value_kind:     global_buffer
      - .address_space:  global
        .offset:         56
        .size:           8
        .value_kind:     global_buffer
      - .address_space:  global
        .offset:         64
        .size:           8
        .value_kind:     global_buffer
      - .address_space:  global
        .offset:         72
        .size:           8
        .value_kind:     global_buffer
    .group_segment_fixed_size: 2560
    .kernarg_segment_align: 8
    .kernarg_segment_size: 80
    .language:       OpenCL C
    .language_version:
      - 2
      - 0
    .max_flat_workgroup_size: 1024
    .name:           _ZL13rwkv_wkv7_f32ILi128EEviiiiPKfS1_S1_S1_S1_S1_S1_Pf
    .private_segment_fixed_size: 404
    .sgpr_count:     31
    .sgpr_spill_count: 0
    .symbol:         _ZL13rwkv_wkv7_f32ILi128EEviiiiPKfS1_S1_S1_S1_S1_S1_Pf.kd
    .uniform_work_group_size: 1
    .uses_dynamic_stack: false
    .vgpr_count:     128
    .vgpr_spill_count: 204
    .wavefront_size: 64
amdhsa.target:   amdgcn-amd-amdhsa--gfx942
amdhsa.version:
  - 1
  - 2
...

	.end_amdgpu_metadata
